;; amdgpu-corpus repo=ROCm/aiter kind=harvested arch=n/a opt=n/a

/root/src/amdgpu-assembly/repos/ROCm__aiter/hsa/gfx942/fmoe_2stages/fmoe_stage1_bf16_pertokenInt8_g1u1_48x128_2tg_pf2.co:	file format elf64-amdgpu

Disassembly of section .text:

0000000000002a00 <_ZN5aiter49fmoe_stage1_bf16_pertokenInt8_g1u1_48x128_2tg_pf2E>:
	s_and_b32 s1, s1, 0xffff                                   // 000000002A00: 8601FF01 0000FFFF
	s_load_dwordx2 s[8:9], s[0:1], 0x0                         // 000000002A08: C0060200 00000000
	s_load_dwordx2 s[20:21], s[0:1], 0x10                      // 000000002A10: C0060500 00000010
	s_load_dwordx2 s[24:25], s[0:1], 0x20                      // 000000002A18: C0060600 00000020
	s_load_dwordx2 s[48:49], s[0:1], 0x30                      // 000000002A20: C0060C00 00000030
	s_load_dwordx2 s[28:29], s[0:1], 0x40                      // 000000002A28: C0060700 00000040
	s_load_dwordx2 s[32:33], s[0:1], 0x50                      // 000000002A30: C0060800 00000050
	s_load_dwordx2 s[36:37], s[0:1], 0x60                      // 000000002A38: C0060900 00000060
	s_load_dwordx2 s[12:13], s[0:1], 0x70                      // 000000002A40: C0060300 00000070
	s_load_dwordx2 s[44:45], s[0:1], 0x80                      // 000000002A48: C0060B00 00000080
	s_mov_b32 s89, 0                                           // 000000002A50: BED90080
	s_load_dword s64, s[0:1], 0x90                             // 000000002A54: C0021000 00000090
	s_load_dword s65, s[0:1], 0xa0                             // 000000002A5C: C0021040 000000A0
	s_load_dword s66, s[0:1], 0xb0                             // 000000002A64: C0021080 000000B0
	s_load_dword s67, s[0:1], 0xc0                             // 000000002A6C: C00210C0 000000C0
	s_load_dword s68, s[0:1], 0xd0                             // 000000002A74: C0021100 000000D0
	s_load_dword s69, s[0:1], 0xe0                             // 000000002A7C: C0021140 000000E0
	s_load_dword s71, s[0:1], 0xf0                             // 000000002A84: C00211C0 000000F0
	s_load_dword s72, s[0:1], 0x100                            // 000000002A8C: C0021200 00000100
	s_load_dword s74, s[0:1], 0x110                            // 000000002A94: C0021280 00000110
	s_load_dword s76, s[0:1], 0x120                            // 000000002A9C: C0021300 00000120
	s_load_dword s56, s[0:1], 0x130                            // 000000002AA4: C0020E00 00000130
	s_load_dword s88, s[0:1], 0x140                            // 000000002AAC: C0021600 00000140
	s_load_dword s89, s[0:1], 0x150                            // 000000002AB4: C0021640 00000150
	v_lshrrev_b32_e32 v1, 10, v0                               // 000000002ABC: 2002008A
	v_lshrrev_b32_e32 v2, 10, v1                               // 000000002AC0: 2004028A
	v_and_b32_e32 v2, 0x3ff, v2                                // 000000002AC4: 260404FF 000003FF
	v_and_b32_e32 v1, 0x3ff, v1                                // 000000002ACC: 260202FF 000003FF
	v_and_b32_e32 v0, 0x3ff, v0                                // 000000002AD4: 260000FF 000003FF
	v_lshrrev_b32_e32 v3, 6, v0                                // 000000002ADC: 20060086
	v_and_b32_e32 v0, 63, v0                                   // 000000002AE0: 260000BF
	s_mov_b32 s2, s2                                           // 000000002AE4: BE820002
	s_mov_b32 s3, s3                                           // 000000002AE8: BE830003
	s_mov_b32 s4, s4                                           // 000000002AEC: BE840004
	v_readfirstlane_b32 s7, v3                                 // 000000002AF0: 7E0E0503
	s_waitcnt lgkmcnt(0)                                       // 000000002AF4: BF8CC07F
	s_and_b32 s49, s49, 0xffff                                 // 000000002AF8: 8631FF31 0000FFFF
	s_load_dword s48, s[48:49], 0x0                            // 000000002B00: C0020C18 00000000
	s_and_b32 s45, s45, 0xffff                                 // 000000002B08: 862DFF2D 0000FFFF
	s_and_b32 s9, s9, 0xffff                                   // 000000002B10: 8609FF09 0000FFFF
	s_mul_i32 s60, s66, s68                                    // 000000002B18: 923C4442
	s_mul_i32 s61, s66, 4                                      // 000000002B1C: 923D8442
	s_mov_b32 s22, s60                                         // 000000002B20: BE96003C
	s_mov_b32 s26, -16                                         // 000000002B24: BE9A00D0
	s_mov_b32 s30, s61                                         // 000000002B28: BE9E003D
	s_mov_b32 s14, 0xc0                                        // 000000002B2C: BE8E00FF 000000C0
	s_mov_b32 s38, -16                                         // 000000002B34: BEA600D0
	s_mov_b32 s10, -16                                         // 000000002B38: BE8A00D0
	s_mov_b32 s34, 0x200                                       // 000000002B3C: BEA200FF 00000200
	s_mov_b32 s23, 0x20000                                     // 000000002B44: BE9700FF 00020000
	s_mov_b32 s27, 0x20000                                     // 000000002B4C: BE9B00FF 00020000
	s_mov_b32 s31, 0x20000                                     // 000000002B54: BE9F00FF 00020000
	s_mov_b32 s35, 0x20000                                     // 000000002B5C: BEA300FF 00020000
	s_mov_b32 s15, 0x20000                                     // 000000002B64: BE8F00FF 00020000
	s_mov_b32 s39, 0x20000                                     // 000000002B6C: BEA700FF 00020000
	s_mov_b32 s11, 0x20000                                     // 000000002B74: BE8B00FF 00020000
	s_and_b32 s21, s21, 0xffff                                 // 000000002B7C: 8615FF15 0000FFFF
	s_and_b32 s25, s25, 0xffff                                 // 000000002B84: 8619FF19 0000FFFF
	s_and_b32 s29, s29, 0xffff                                 // 000000002B8C: 861DFF1D 0000FFFF
	s_and_b32 s33, s33, 0xffff                                 // 000000002B94: 8621FF21 0000FFFF
	s_and_b32 s13, s13, 0xffff                                 // 000000002B9C: 860DFF0D 0000FFFF
	s_and_b32 s37, s37, 0xffff                                 // 000000002BA4: 8625FF25 0000FFFF
	s_or_b32 s21, s21, 0x40000                                 // 000000002BAC: 8715FF15 00040000
	s_or_b32 s25, s25, 0x40000                                 // 000000002BB4: 8719FF19 00040000
	s_or_b32 s29, s29, 0x40000                                 // 000000002BBC: 871DFF1D 00040000
	s_or_b32 s33, s33, 0x40000                                 // 000000002BC4: 8721FF21 00040000
	s_or_b32 s13, s13, 0x40000                                 // 000000002BCC: 870DFF0D 00040000
	s_or_b32 s37, s37, 0x40000                                 // 000000002BD4: 8725FF25 00040000
	v_accvgpr_write_b32 a79, 0                                 // 000000002BDC: D3D9404F 18000080
	v_mov_b32_e32 v95, 0                                       // 000000002BE4: 7EBE0280
	s_waitcnt lgkmcnt(0)                                       // 000000002BE8: BF8CC07F
	s_mul_i32 s60, s3, 48                                      // 000000002BEC: 923CB003
	s_cmp_lt_i32 s60, s48                                      // 000000002BF0: BF04303C
	s_cbranch_scc0 label_13C4                                  // 000000002BF4: BF841343
	s_mov_b32 s80, 0                                           // 000000002BF8: BED00080
	s_lshr_b32 s81, s64, s88                                   // 000000002BFC: 8F515840
	s_mul_i32 s60, s3, 4                                       // 000000002C00: 923C8403
	s_add_u32 s44, s60, s44                                    // 000000002C04: 802C2C3C
	s_addc_u32 s45, 0, s45                                     // 000000002C08: 822D2D80
	s_load_dword s5, s[44:45], 0x0                             // 000000002C0C: C0020156 00000000
	s_mul_i32 s60, s3, 48                                      // 000000002C14: 923CB003
	s_mul_i32 s60, 4, s60                                      // 000000002C18: 923C3C84
	s_add_u32 s12, s60, s12                                    // 000000002C1C: 800C0C3C
	s_addc_u32 s13, 0, s13                                     // 000000002C20: 820D0D80
	v_and_b32_e32 v4, 15, v0                                   // 000000002C24: 2608008F
	v_lshlrev_b32_e32 v4, 2, v4                                // 000000002C28: 24080882
	buffer_load_dword v28, v4, s[12:15], 0 offen               // 000000002C2C: E0501000 80031C04
	v_add_u32_e32 v4, 64, v4                                   // 000000002C34: 680808C0
	buffer_load_dword v29, v4, s[12:15], 0 offen               // 000000002C38: E0501000 80031D04
	v_add_u32_e32 v4, 64, v4                                   // 000000002C40: 680808C0
	buffer_load_dword v30, v4, s[12:15], 0 offen               // 000000002C44: E0501000 80031E04
	v_add_u32_e32 v4, 64, v4                                   // 000000002C4C: 680808C0
	s_mul_i32 s60, 4, s7                                       // 000000002C50: 923C0784
	v_lshlrev_b32_e32 v4, 4, v0                                // 000000002C54: 24080084
	v_add_u32_e32 v4, s60, v4                                  // 000000002C58: 6808083C
	buffer_load_dword v3, v4, s[12:15], 0 offen                // 000000002C5C: E0501000 80030304
	v_mov_b32_e32 v48, 0                                       // 000000002C64: 7E600280
	v_mov_b32_e32 v72, 0                                       // 000000002C68: 7E900280
	v_mov_b32_e32 v49, 0                                       // 000000002C6C: 7E620280
	v_mov_b32_e32 v73, 0                                       // 000000002C70: 7E920280
	v_mov_b32_e32 v50, 0                                       // 000000002C74: 7E640280
	v_mov_b32_e32 v74, 0                                       // 000000002C78: 7E940280
	v_mov_b32_e32 v51, 0                                       // 000000002C7C: 7E660280
	v_mov_b32_e32 v75, 0                                       // 000000002C80: 7E960280
	v_mov_b32_e32 v52, 0                                       // 000000002C84: 7E680280
	v_mov_b32_e32 v76, 0                                       // 000000002C88: 7E980280
	v_mov_b32_e32 v53, 0                                       // 000000002C8C: 7E6A0280
	v_mov_b32_e32 v77, 0                                       // 000000002C90: 7E9A0280
	v_mov_b32_e32 v54, 0                                       // 000000002C94: 7E6C0280
	v_mov_b32_e32 v78, 0                                       // 000000002C98: 7E9C0280
	v_mov_b32_e32 v55, 0                                       // 000000002C9C: 7E6E0280
	v_mov_b32_e32 v79, 0                                       // 000000002CA0: 7E9E0280
	v_mov_b32_e32 v56, 0                                       // 000000002CA4: 7E700280
	v_mov_b32_e32 v80, 0                                       // 000000002CA8: 7EA00280
	v_mov_b32_e32 v57, 0                                       // 000000002CAC: 7E720280
	v_mov_b32_e32 v81, 0                                       // 000000002CB0: 7EA20280
	v_mov_b32_e32 v58, 0                                       // 000000002CB4: 7E740280
	v_mov_b32_e32 v82, 0                                       // 000000002CB8: 7EA40280
	v_mov_b32_e32 v59, 0                                       // 000000002CBC: 7E760280
	v_mov_b32_e32 v83, 0                                       // 000000002CC0: 7EA60280
	v_mov_b32_e32 v60, 0                                       // 000000002CC4: 7E780280
	v_mov_b32_e32 v84, 0                                       // 000000002CC8: 7EA80280
	v_mov_b32_e32 v61, 0                                       // 000000002CCC: 7E7A0280
	v_mov_b32_e32 v85, 0                                       // 000000002CD0: 7EAA0280
	v_mov_b32_e32 v62, 0                                       // 000000002CD4: 7E7C0280
	v_mov_b32_e32 v86, 0                                       // 000000002CD8: 7EAC0280
	v_mov_b32_e32 v63, 0                                       // 000000002CDC: 7E7E0280
	v_mov_b32_e32 v87, 0                                       // 000000002CE0: 7EAE0280
	v_mov_b32_e32 v64, 0                                       // 000000002CE4: 7E800280
	v_mov_b32_e32 v88, 0                                       // 000000002CE8: 7EB00280
	v_mov_b32_e32 v65, 0                                       // 000000002CEC: 7E820280
	v_mov_b32_e32 v89, 0                                       // 000000002CF0: 7EB20280
	v_mov_b32_e32 v66, 0                                       // 000000002CF4: 7E840280
	v_mov_b32_e32 v90, 0                                       // 000000002CF8: 7EB40280
	v_mov_b32_e32 v67, 0                                       // 000000002CFC: 7E860280
	v_mov_b32_e32 v91, 0                                       // 000000002D00: 7EB60280
	v_mov_b32_e32 v68, 0                                       // 000000002D04: 7E880280
	v_mov_b32_e32 v92, 0                                       // 000000002D08: 7EB80280
	v_mov_b32_e32 v69, 0                                       // 000000002D0C: 7E8A0280
	v_mov_b32_e32 v93, 0                                       // 000000002D10: 7EBA0280
	v_mov_b32_e32 v70, 0                                       // 000000002D14: 7E8C0280
	v_mov_b32_e32 v94, 0                                       // 000000002D18: 7EBC0280
	v_mov_b32_e32 v71, 0                                       // 000000002D1C: 7E8E0280
	v_mov_b32_e32 v95, 0                                       // 000000002D20: 7EBE0280
	s_mul_i32 s60, s2, 0x100                                   // 000000002D24: 923CFF02 00000100
	s_cmp_eq_u32 s88, 0                                        // 000000002D2C: BF068058
	s_cselect_b32 s61, 1, 2                                    // 000000002D30: 853D8281
	s_mul_i32 s60, s60, s61                                    // 000000002D34: 923C3D3C
	s_mov_b32 s90, s8                                          // 000000002D38: BEDA0008
	s_mov_b32 s91, s9                                          // 000000002D3C: BEDB0009
	s_add_u32 s8, s60, s8                                      // 000000002D40: 8008083C
	s_addc_u32 s9, 0, s9                                       // 000000002D44: 82090980
	v_lshrrev_b32_e32 v4, 4, v0                                // 000000002D48: 20080084
	v_mul_lo_u32 v20, 34, v4                                   // 000000002D4C: D2850014 000208A2
	v_and_b32_e32 v4, 15, v0                                   // 000000002D54: 2608008F
	v_mul_lo_u32 v5, 2, v4                                     // 000000002D58: D2850005 00020882
	v_add_u32_e32 v20, v5, v20                                 // 000000002D60: 68282905
	s_mul_i32 s60, s7, 0x88                                    // 000000002D64: 923CFF07 00000088
	v_add_u32_e32 v20, s60, v20                                // 000000002D6C: 6828283C
	v_lshlrev_b32_e32 v20, 2, v20                              // 000000002D70: 24282882
	v_and_b32_e32 v4, 31, v0                                   // 000000002D74: 2608009F
	v_lshrrev_b32_e32 v4, 1, v4                                // 000000002D78: 20080881
	v_mul_lo_u32 v21, 34, v4                                   // 000000002D7C: D2850015 000208A2
	v_lshrrev_b32_e32 v4, 5, v0                                // 000000002D84: 20080085
	v_mul_lo_u32 v4, 8, v4                                     // 000000002D88: D2850004 00020888
	v_add_u32_e32 v21, v21, v4                                 // 000000002D90: 682A0915
	v_and_b32_e32 v5, 1, v0                                    // 000000002D94: 260A0081
	v_add_u32_e32 v21, v5, v21                                 // 000000002D98: 682A2B05
	s_mul_i32 s60, s7, 2                                       // 000000002D9C: 923C8207
	v_add_u32_e32 v21, s60, v21                                // 000000002DA0: 682A2A3C
	v_lshlrev_b32_e32 v21, 2, v21                              // 000000002DA4: 242A2A82
	s_mul_i32 s60, s7, 0x620                                   // 000000002DA8: 923CFF07 00000620
	s_add_u32 s48, 0, s60                                      // 000000002DB0: 80303C80
	s_add_u32 s49, 0x1880, s48                                 // 000000002DB4: 803130FF 00001880
	v_lshrrev_b32_e32 v4, 4, v0                                // 000000002DBC: 20080084
	v_lshlrev_b32_e32 v5, 2, v4                                // 000000002DC0: 240A0882
	v_and_b32_e32 v4, 15, v0                                   // 000000002DC4: 2608008F
	v_lshrrev_b32_e32 v6, 2, v4                                // 000000002DC8: 200C0882
	v_lshlrev_b32_e32 v6, 5, v6                                // 000000002DCC: 240C0C85
	v_add_u32_e32 v5, v6, v5                                   // 000000002DD0: 680A0B06
	v_and_b32_e32 v4, 3, v0                                    // 000000002DD4: 26080083
	v_mul_u32_u24_e32 v6, 0x188, v4                            // 000000002DD8: 100C08FF 00000188
	v_add_u32_e32 v5, v6, v5                                   // 000000002DE0: 680A0B06
	v_lshlrev_b32_e32 v2, 2, v5                                // 000000002DE4: 24040A82
	s_waitcnt lgkmcnt(0)                                       // 000000002DE8: BF8CC07F
	s_mul_i32 s60, s2, 0x80                                    // 000000002DEC: 923CFF02 00000080
	s_mul_i32 s60, s60, s69                                    // 000000002DF4: 923C453C
	s_mul_i32 s61, s5, s72                                     // 000000002DF8: 923D4805
	s_add_u32 s60, s61, s60                                    // 000000002DFC: 803C3C3D
	s_add_u32 s24, s60, s24                                    // 000000002E00: 8018183C
	s_addc_u32 s25, 0, s25                                     // 000000002E04: 82191980
	s_lshr_b32 s60, s64, s88                                   // 000000002E08: 8F3C5840
	s_mul_i32 s60, s4, s60                                     // 000000002E0C: 923C3C04
	s_lshr_b32 s60, s60, 7                                     // 000000002E10: 8F3C873C
	s_mul_i32 s60, s60, 0x800                                  // 000000002E14: 923CFF3C 00000800
	s_add_u32 s24, s60, s24                                    // 000000002E1C: 8018183C
	s_addc_u32 s25, 0, s25                                     // 000000002E20: 82191980
	s_lshr_b32 s60, s69, s88                                   // 000000002E24: 8F3C5845
	s_mul_i32 s60, s4, s60                                     // 000000002E28: 923C3C04
	s_add_u32 s20, s60, s20                                    // 000000002E2C: 8014143C
	s_addc_u32 s21, 0, s21                                     // 000000002E30: 82151580
	s_mul_i32 s60, s7, 16                                      // 000000002E34: 923C9007
	s_mul_i32 s60, s60, s69                                    // 000000002E38: 923C453C
	v_lshlrev_b32_e32 v46, 4, v0                               // 000000002E3C: 245C0084
	v_add_u32_e32 v46, s60, v46                                // 000000002E40: 685C5C3C
	s_mul_i32 s60, 64, s69                                     // 000000002E44: 923C45C0
	v_add_u32_e32 v47, s60, v46                                // 000000002E48: 685E5C3C
	s_mov_b32 s84, s24                                         // 000000002E4C: BED40018
	s_mov_b32 s85, s25                                         // 000000002E50: BED50019
	s_mov_b32 s86, s26                                         // 000000002E54: BED6001A
	s_mov_b32 s87, s27                                         // 000000002E58: BED7001B
	s_mul_i32 s60, s69, s65                                    // 000000002E5C: 923C4145
	s_add_u32 s84, s60, s84                                    // 000000002E60: 8054543C
	s_addc_u32 s85, 0, s85                                     // 000000002E64: 82555580
	v_lshrrev_b32_e32 v4, 4, v0                                // 000000002E68: 20080084
	v_lshlrev_b32_e32 v5, 2, v4                                // 000000002E6C: 240A0882
	v_and_b32_e32 v4, 15, v0                                   // 000000002E70: 2608008F
	v_lshrrev_b32_e32 v6, 2, v4                                // 000000002E74: 200C0882
	v_lshlrev_b32_e32 v6, 6, v6                                // 000000002E78: 240C0C86
	v_add_u32_e32 v5, v6, v5                                   // 000000002E7C: 680A0B06
	v_and_b32_e32 v4, 3, v0                                    // 000000002E80: 26080083
	v_add_u32_e32 v5, v4, v5                                   // 000000002E84: 680A0B04
	v_lshlrev_b32_e32 v22, 2, v5                               // 000000002E88: 242C0A82
	s_mul_i32 s60, s7, 16                                      // 000000002E8C: 923C9007
	s_mul_i32 s60, s60, 4                                      // 000000002E90: 923C843C
	v_add_u32_e32 v22, s60, v22                                // 000000002E94: 682C2C3C
	s_mul_i32 s60, s2, 0x80                                    // 000000002E98: 923CFF02 00000080
	s_mul_i32 s60, s60, 4                                      // 000000002EA0: 923C843C
	s_mul_i32 s61, s5, s74                                     // 000000002EA4: 923D4A05
	s_add_u32 s61, s61, s60                                    // 000000002EA8: 803D3C3D
	s_add_u32 s32, s61, s32                                    // 000000002EAC: 8020203D
	s_addc_u32 s33, 0, s33                                     // 000000002EB0: 82212180
	s_mov_b32 s57, 0x80                                        // 000000002EB4: BEB900FF 00000080
	s_mov_b32 s58, 0x800                                       // 000000002EBC: BEBA00FF 00000800
	s_mov_b32 s83, s58                                         // 000000002EC4: BED3003A
	s_mov_b32 s52, 0x7060302                                   // 000000002EC8: BEB400FF 07060302
	s_mov_b32 s53, 0x400                                       // 000000002ED0: BEB500FF 00000400
	s_mov_b32 s54, 0x40100                                     // 000000002ED8: BEB600FF 00040100
	s_mov_b32 s55, 0x4020100                                   // 000000002EE0: BEB700FF 04020100
	s_mov_b32 s6, 0x3fb8aa3b                                   // 000000002EE8: BE8600FF 3FB8AA3B
	s_mov_b32 s78, 0xbd92220c                                  // 000000002EF0: BECE00FF BD92220C
	s_mov_b32 s79, 0xbd92220c                                  // 000000002EF8: BECF00FF BD92220C
	s_mov_b32 m0, s48                                          // 000000002F00: BEFC0030
	v_mov_b32_e32 v1, 0xbfcc4231                               // 000000002F04: 7E0202FF BFCC4231
	v_mov_b32_e32 v17, 0xffff0000                              // 000000002F0C: 7E2202FF FFFF0000
	v_mov_b32_e32 v18, 0x7fff0000                              // 000000002F14: 7E2402FF 7FFF0000
	v_mov_b32_e32 v19, 0x7fff                                  // 000000002F1C: 7E2602FF 00007FFF
	s_waitcnt vmcnt(0) expcnt(0) lgkmcnt(0)                    // 000000002F24: BF8C0000
	v_lshrrev_b32_e32 v4, 5, v0                                // 000000002F28: 20080085
	v_xor_b32_e32 v5, 1, v4                                    // 000000002F2C: 2A0A0881
	v_readlane_b32 s82, v3, 0                                  // 000000002F30: D2890052 00010103
	s_and_b32 s82, s82, 0xffffff                               // 000000002F38: 8652FF52 00FFFFFF
	v_mul_lo_u32 v6, v5, s82                                   // 000000002F40: D2850006 0000A505
	v_readlane_b32 s82, v3, 1                                  // 000000002F48: D2890052 00010303
	s_and_b32 s82, s82, 0xffffff                               // 000000002F50: 8652FF52 00FFFFFF
	v_mul_lo_u32 v7, v4, s82                                   // 000000002F58: D2850007 0000A504
	v_add_u32_e32 v40, v6, v7                                  // 000000002F60: 68500F06
	v_mul_lo_u32 v40, v40, s68                                 // 000000002F64: D2850028 00008928
	v_readlane_b32 s82, v3, 2                                  // 000000002F6C: D2890052 00010503
	s_and_b32 s82, s82, 0xffffff                               // 000000002F74: 8652FF52 00FFFFFF
	v_mul_lo_u32 v6, v5, s82                                   // 000000002F7C: D2850006 0000A505
	v_readlane_b32 s82, v3, 3                                  // 000000002F84: D2890052 00010703
	s_and_b32 s82, s82, 0xffffff                               // 000000002F8C: 8652FF52 00FFFFFF
	v_mul_lo_u32 v7, v4, s82                                   // 000000002F94: D2850007 0000A504
	v_add_u32_e32 v41, v6, v7                                  // 000000002F9C: 68520F06
	v_mul_lo_u32 v41, v41, s68                                 // 000000002FA0: D2850029 00008929
	v_readlane_b32 s82, v3, 4                                  // 000000002FA8: D2890052 00010903
	s_and_b32 s82, s82, 0xffffff                               // 000000002FB0: 8652FF52 00FFFFFF
	v_mul_lo_u32 v6, v5, s82                                   // 000000002FB8: D2850006 0000A505
	v_readlane_b32 s82, v3, 5                                  // 000000002FC0: D2890052 00010B03
	s_and_b32 s82, s82, 0xffffff                               // 000000002FC8: 8652FF52 00FFFFFF
	v_mul_lo_u32 v7, v4, s82                                   // 000000002FD0: D2850007 0000A504
	v_add_u32_e32 v42, v6, v7                                  // 000000002FD8: 68540F06
	v_mul_lo_u32 v42, v42, s68                                 // 000000002FDC: D285002A 0000892A
	v_readlane_b32 s82, v3, 6                                  // 000000002FE4: D2890052 00010D03
	s_and_b32 s82, s82, 0xffffff                               // 000000002FEC: 8652FF52 00FFFFFF
	v_mul_lo_u32 v6, v5, s82                                   // 000000002FF4: D2850006 0000A505
	v_readlane_b32 s82, v3, 7                                  // 000000002FFC: D2890052 00010F03
	s_and_b32 s82, s82, 0xffffff                               // 000000003004: 8652FF52 00FFFFFF
	v_mul_lo_u32 v7, v4, s82                                   // 00000000300C: D2850007 0000A504
	v_add_u32_e32 v43, v6, v7                                  // 000000003014: 68560F06
	v_mul_lo_u32 v43, v43, s68                                 // 000000003018: D285002B 0000892B
	v_readlane_b32 s82, v3, 8                                  // 000000003020: D2890052 00011103
	s_and_b32 s82, s82, 0xffffff                               // 000000003028: 8652FF52 00FFFFFF
	v_mul_lo_u32 v6, v5, s82                                   // 000000003030: D2850006 0000A505
	v_readlane_b32 s82, v3, 9                                  // 000000003038: D2890052 00011303
	s_and_b32 s82, s82, 0xffffff                               // 000000003040: 8652FF52 00FFFFFF
	v_mul_lo_u32 v7, v4, s82                                   // 000000003048: D2850007 0000A504
	v_add_u32_e32 v44, v6, v7                                  // 000000003050: 68580F06
	v_mul_lo_u32 v44, v44, s68                                 // 000000003054: D285002C 0000892C
	v_readlane_b32 s82, v3, 10                                 // 00000000305C: D2890052 00011503
	s_and_b32 s82, s82, 0xffffff                               // 000000003064: 8652FF52 00FFFFFF
	v_mul_lo_u32 v6, v5, s82                                   // 00000000306C: D2850006 0000A505
	v_readlane_b32 s82, v3, 11                                 // 000000003074: D2890052 00011703
	s_and_b32 s82, s82, 0xffffff                               // 00000000307C: 8652FF52 00FFFFFF
	v_mul_lo_u32 v7, v4, s82                                   // 000000003084: D2850007 0000A504
	v_add_u32_e32 v45, v6, v7                                  // 00000000308C: 685A0F06
	v_mul_lo_u32 v45, v45, s68                                 // 000000003090: D285002D 0000892D
	v_and_b32_e32 v4, 31, v0                                   // 000000003098: 2608009F
	v_lshlrev_b32_e32 v4, 2, v4                                // 00000000309C: 24080882
	v_add_u32_e32 v40, v40, v4                                 // 0000000030A0: 68500928
	v_add_u32_e32 v41, v41, v4                                 // 0000000030A4: 68520929
	v_add_u32_e32 v42, v42, v4                                 // 0000000030A8: 6854092A
	v_add_u32_e32 v43, v43, v4                                 // 0000000030AC: 6856092B
	v_add_u32_e32 v44, v44, v4                                 // 0000000030B0: 6858092C
	v_add_u32_e32 v45, v45, v4                                 // 0000000030B4: 685A092D
	v_and_b32_e32 v28, 0xffffff, v28                           // 0000000030B8: 263838FF 00FFFFFF
	v_lshlrev_b32_e32 v28, 2, v28                              // 0000000030C0: 24383882
	v_and_b32_e32 v29, 0xffffff, v29                           // 0000000030C4: 263A3AFF 00FFFFFF
	v_lshlrev_b32_e32 v29, 2, v29                              // 0000000030CC: 243A3A82
	v_and_b32_e32 v30, 0xffffff, v30                           // 0000000030D0: 263C3CFF 00FFFFFF
	v_lshlrev_b32_e32 v30, 2, v30                              // 0000000030D8: 243C3C82
	s_lshl_b32 s3, s66, 2                                      // 0000000030DC: 8E038242
	buffer_load_dword v31, v28, s[28:31], 0 offen              // 0000000030E0: E0501000 80071F1C
	buffer_load_dword v32, v29, s[28:31], 0 offen              // 0000000030E8: E0501000 8007201D
	buffer_load_dword v33, v30, s[28:31], 0 offen              // 0000000030F0: E0501000 8007211E
	buffer_load_dword v24, v22, s[32:35], 0 offen              // 0000000030F8: E0501000 80081816
	s_mul_i32 s60, 4, s65                                      // 000000003100: 923C4184
	s_add_u32 s32, s60, s32                                    // 000000003104: 8020203C
	s_addc_u32 s33, 0, s33                                     // 000000003108: 82212180
	buffer_load_dword v26, v22, s[32:35], 0 offen              // 00000000310C: E0501000 80081A16
	buffer_load_dword v40, s[20:23], 0 offen lds               // 000000003114: E0511000 80050028
	s_add_u32 m0, 0x100, s48                                   // 00000000311C: 807C30FF 00000100
	buffer_load_dword v41, s[20:23], 0 offen lds               // 000000003124: E0511000 80050029
	s_add_u32 m0, 0x200, s48                                   // 00000000312C: 807C30FF 00000200
	buffer_load_dword v42, s[20:23], 0 offen lds               // 000000003134: E0511000 8005002A
	s_add_u32 m0, 0x300, s48                                   // 00000000313C: 807C30FF 00000300
	buffer_load_dword v43, s[20:23], 0 offen lds               // 000000003144: E0511000 8005002B
	s_add_u32 m0, 0x400, s48                                   // 00000000314C: 807C30FF 00000400
	buffer_load_dword v44, s[20:23], 0 offen lds               // 000000003154: E0511000 8005002C
	s_add_u32 m0, 0x500, s48                                   // 00000000315C: 807C30FF 00000500
	buffer_load_dword v45, s[20:23], 0 offen lds               // 000000003164: E0511000 8005002D
	s_add_u32 m0, 0, s49                                       // 00000000316C: 807C3180
	s_add_u32 s20, s57, s20                                    // 000000003170: 80141439
	s_addc_u32 s21, 0, s21                                     // 000000003174: 82151580
	buffer_load_dword v40, s[20:23], 0 offen lds               // 000000003178: E0511000 80050028
	s_add_u32 m0, 0x100, s49                                   // 000000003180: 807C31FF 00000100
	buffer_load_dword v41, s[20:23], 0 offen lds               // 000000003188: E0511000 80050029
	s_add_u32 m0, 0x200, s49                                   // 000000003190: 807C31FF 00000200
	buffer_load_dword v42, s[20:23], 0 offen lds               // 000000003198: E0511000 8005002A
	s_add_u32 m0, 0x300, s49                                   // 0000000031A0: 807C31FF 00000300
	buffer_load_dword v43, s[20:23], 0 offen lds               // 0000000031A8: E0511000 8005002B
	s_add_u32 m0, 0x400, s49                                   // 0000000031B0: 807C31FF 00000400
	buffer_load_dword v44, s[20:23], 0 offen lds               // 0000000031B8: E0511000 8005002C
	s_add_u32 m0, 0x500, s49                                   // 0000000031C0: 807C31FF 00000500
	buffer_load_dword v45, s[20:23], 0 offen lds               // 0000000031C8: E0511000 8005002D
	s_add_u32 m0, 0, s48                                       // 0000000031D0: 807C3080
	s_add_u32 s20, s57, s20                                    // 0000000031D4: 80141439
	s_addc_u32 s21, 0, s21                                     // 0000000031D8: 82151580
	buffer_load_dwordx4 a[48:51], v46, s[24:27], 0 offen       // 0000000031DC: E05C1000 8086302E
	buffer_load_dwordx4 a[52:55], v46, s[24:27], 0 offen offset:1024// 0000000031E4: E05C1400 8086342E
	buffer_load_dwordx4 a[56:59], v47, s[24:27], 0 offen       // 0000000031EC: E05C1000 8086382F
	buffer_load_dwordx4 a[60:63], v47, s[24:27], 0 offen offset:1024// 0000000031F4: E05C1400 80863C2F
	s_add_u32 s24, s58, s24                                    // 0000000031FC: 8018183A
	s_addc_u32 s25, 0, s25                                     // 000000003200: 82191980
	s_waitcnt vmcnt(10)                                        // 000000003204: BF8C0F7A
	s_barrier                                                  // 000000003208: BF8A0000
	ds_read_b128 a[0:3], v2                                    // 00000000320C: DBFE0000 00000002
	ds_read_b128 a[4:7], v2 offset:64                          // 000000003214: DBFE0040 04000002
	ds_read_b128 a[8:11], v2 offset:512                        // 00000000321C: DBFE0200 08000002
	ds_read_b128 a[12:15], v2 offset:576                       // 000000003224: DBFE0240 0C000002
	ds_read_b128 a[16:19], v2 offset:1024                      // 00000000322C: DBFE0400 10000002
	ds_read_b128 a[20:23], v2 offset:1088                      // 000000003234: DBFE0440 14000002
	s_cmp_lt_i32 s7, 2                                         // 00000000323C: BF048207
	s_cbranch_scc0 label_0AEC                                  // 000000003240: BF8408D8

0000000000003244 <label_0211>:
	s_waitcnt vmcnt(2) lgkmcnt(0)                              // 000000003244: BF8C0072
	s_barrier                                                  // 000000003248: BF8A0000
	v_mfma_i32_16x16x32_i8 v[48:51], a[48:49], a[0:1], v[48:51]// 00000000324C: D3D70030 1CC20130
	v_mfma_i32_16x16x32_i8 v[48:51], a[50:51], a[2:3], v[48:51]// 000000003254: D3D70030 1CC20532
	buffer_load_dwordx4 a[64:67], v46, s[84:87], 0 offen       // 00000000325C: E05C1000 8095402E
	v_mfma_i32_16x16x32_i8 v[48:51], a[52:53], a[4:5], v[48:51]// 000000003264: D3D70030 1CC20934
	v_mfma_i32_16x16x32_i8 v[48:51], a[54:55], a[6:7], v[48:51]// 00000000326C: D3D70030 1CC20D36
	v_mfma_i32_16x16x32_i8 v[52:55], a[48:49], a[8:9], v[52:55]// 000000003274: D3D70034 1CD21130
	v_mfma_i32_16x16x32_i8 v[52:55], a[50:51], a[10:11], v[52:55]// 00000000327C: D3D70034 1CD21532
	buffer_load_dwordx4 a[68:71], v46, s[84:87], 0 offen offset:1024// 000000003284: E05C1400 8095442E
	v_mfma_i32_16x16x32_i8 v[52:55], a[52:53], a[12:13], v[52:55]// 00000000328C: D3D70034 1CD21934
	v_mfma_i32_16x16x32_i8 v[52:55], a[54:55], a[14:15], v[52:55]// 000000003294: D3D70034 1CD21D36
	v_mfma_i32_16x16x32_i8 v[56:59], a[48:49], a[16:17], v[56:59]// 00000000329C: D3D70038 1CE22130
	v_mfma_i32_16x16x32_i8 v[56:59], a[50:51], a[18:19], v[56:59]// 0000000032A4: D3D70038 1CE22532
	buffer_load_dwordx4 a[72:75], v47, s[84:87], 0 offen       // 0000000032AC: E05C1000 8095482F
	v_mfma_i32_16x16x32_i8 v[56:59], a[52:53], a[20:21], v[56:59]// 0000000032B4: D3D70038 1CE22934
	v_mfma_i32_16x16x32_i8 v[56:59], a[54:55], a[22:23], v[56:59]// 0000000032BC: D3D70038 1CE22D36
	s_waitcnt vmcnt(3)                                         // 0000000032C4: BF8C0F73
	v_mfma_i32_16x16x32_i8 v[60:63], a[56:57], a[0:1], v[60:63]// 0000000032C8: D3D7003C 1CF20138
	v_mfma_i32_16x16x32_i8 v[60:63], a[58:59], a[2:3], v[60:63]// 0000000032D0: D3D7003C 1CF2053A
	buffer_load_dwordx4 a[76:79], v47, s[84:87], 0 offen offset:1024// 0000000032D8: E05C1400 80954C2F
	buffer_load_dword v40, s[20:23], 0 offen lds               // 0000000032E0: E0511000 80050028
	s_add_u32 m0, 0x100, s48                                   // 0000000032E8: 807C30FF 00000100
	v_mfma_i32_16x16x32_i8 v[60:63], a[60:61], a[4:5], v[60:63]// 0000000032F0: D3D7003C 1CF2093C
	v_mfma_i32_16x16x32_i8 v[60:63], a[62:63], a[6:7], v[60:63]// 0000000032F8: D3D7003C 1CF20D3E
	buffer_load_dword v41, s[20:23], 0 offen lds               // 000000003300: E0511000 80050029
	s_add_u32 m0, 0x200, s48                                   // 000000003308: 807C30FF 00000200
	v_mfma_i32_16x16x32_i8 v[64:67], a[56:57], a[8:9], v[64:67]// 000000003310: D3D70040 1D021138
	v_mfma_i32_16x16x32_i8 v[64:67], a[58:59], a[10:11], v[64:67]// 000000003318: D3D70040 1D02153A
	buffer_load_dword v42, s[20:23], 0 offen lds               // 000000003320: E0511000 8005002A
	s_add_u32 m0, 0x300, s48                                   // 000000003328: 807C30FF 00000300
	v_mfma_i32_16x16x32_i8 v[64:67], a[60:61], a[12:13], v[64:67]// 000000003330: D3D70040 1D02193C
	v_mfma_i32_16x16x32_i8 v[64:67], a[62:63], a[14:15], v[64:67]// 000000003338: D3D70040 1D021D3E
	buffer_load_dword v43, s[20:23], 0 offen lds               // 000000003340: E0511000 8005002B
	s_add_u32 m0, 0x400, s48                                   // 000000003348: 807C30FF 00000400
	v_mfma_i32_16x16x32_i8 v[68:71], a[56:57], a[16:17], v[68:71]// 000000003350: D3D70044 1D122138
	v_mfma_i32_16x16x32_i8 v[68:71], a[58:59], a[18:19], v[68:71]// 000000003358: D3D70044 1D12253A
	buffer_load_dword v44, s[20:23], 0 offen lds               // 000000003360: E0511000 8005002C
	s_add_u32 m0, 0x500, s48                                   // 000000003368: 807C30FF 00000500
	s_add_u32 s60, 0x80, s80                                   // 000000003370: 803C50FF 00000080
	s_cmp_lt_u32 s60, s81                                      // 000000003378: BF0A513C
	s_cselect_b32 s83, s83, 0                                  // 00000000337C: 85538053
	v_mfma_i32_16x16x32_i8 v[68:71], a[60:61], a[20:21], v[68:71]// 000000003380: D3D70044 1D12293C
	v_mfma_i32_16x16x32_i8 v[68:71], a[62:63], a[22:23], v[68:71]// 000000003388: D3D70044 1D122D3E
	buffer_load_dword v45, s[20:23], 0 offen lds               // 000000003390: E0511000 8005002D
	s_add_u32 m0, 0, s49                                       // 000000003398: 807C3180
	s_waitcnt vmcnt(6)                                         // 00000000339C: BF8C0F76
	v_mfma_i32_16x16x32_i8 v[72:75], a[64:65], a[0:1], v[72:75]// 0000000033A0: D3D70048 1D220140
	v_mfma_i32_16x16x32_i8 v[72:75], a[66:67], a[2:3], v[72:75]// 0000000033A8: D3D70048 1D220542
	buffer_load_dwordx4 a[48:51], v46, s[24:27], 0 offen       // 0000000033B0: E05C1000 8086302E
	v_mfma_i32_16x16x32_i8 v[72:75], a[68:69], a[4:5], v[72:75]// 0000000033B8: D3D70048 1D220944
	v_mfma_i32_16x16x32_i8 v[72:75], a[70:71], a[6:7], v[72:75]// 0000000033C0: D3D70048 1D220D46
	ds_read_b128 a[24:27], v2 offset:6272                      // 0000000033C8: DBFE1880 18000002
	ds_read_b128 a[28:31], v2 offset:6336                      // 0000000033D0: DBFE18C0 1C000002
	v_mfma_i32_16x16x32_i8 v[84:87], a[72:73], a[0:1], v[84:87]// 0000000033D8: D3D70054 1D520148
	v_mfma_i32_16x16x32_i8 v[84:87], a[74:75], a[2:3], v[84:87]// 0000000033E0: D3D70054 1D52054A
	buffer_load_dwordx4 a[52:55], v46, s[24:27], 0 offen offset:1024// 0000000033E8: E05C1400 8086342E
	v_mfma_i32_16x16x32_i8 v[84:87], a[76:77], a[4:5], v[84:87]// 0000000033F0: D3D70054 1D52094C
	v_mfma_i32_16x16x32_i8 v[84:87], a[78:79], a[6:7], v[84:87]// 0000000033F8: D3D70054 1D520D4E
	ds_read_b128 a[32:35], v2 offset:6784                      // 000000003400: DBFE1A80 20000002
	ds_read_b128 a[36:39], v2 offset:6848                      // 000000003408: DBFE1AC0 24000002
	v_mfma_i32_16x16x32_i8 v[76:79], a[64:65], a[8:9], v[76:79]// 000000003410: D3D7004C 1D321140
	v_mfma_i32_16x16x32_i8 v[76:79], a[66:67], a[10:11], v[76:79]// 000000003418: D3D7004C 1D321542
	buffer_load_dwordx4 a[56:59], v47, s[24:27], 0 offen       // 000000003420: E05C1000 8086382F
	v_mfma_i32_16x16x32_i8 v[76:79], a[68:69], a[12:13], v[76:79]// 000000003428: D3D7004C 1D321944
	v_mfma_i32_16x16x32_i8 v[76:79], a[70:71], a[14:15], v[76:79]// 000000003430: D3D7004C 1D321D46
	ds_read_b128 a[40:43], v2 offset:7296                      // 000000003438: DBFE1C80 28000002
	ds_read_b128 a[44:47], v2 offset:7360                      // 000000003440: DBFE1CC0 2C000002
	v_mfma_i32_16x16x32_i8 v[88:91], a[72:73], a[8:9], v[88:91]// 000000003448: D3D70058 1D621148
	v_mfma_i32_16x16x32_i8 v[88:91], a[74:75], a[10:11], v[88:91]// 000000003450: D3D70058 1D62154A
	buffer_load_dwordx4 a[60:63], v47, s[24:27], 0 offen offset:1024// 000000003458: E05C1400 80863C2F
	v_mfma_i32_16x16x32_i8 v[88:91], a[76:77], a[12:13], v[88:91]// 000000003460: D3D70058 1D62194C
	v_mfma_i32_16x16x32_i8 v[88:91], a[78:79], a[14:15], v[88:91]// 000000003468: D3D70058 1D621D4E
	v_mfma_i32_16x16x32_i8 v[80:83], a[64:65], a[16:17], v[80:83]// 000000003470: D3D70050 1D422140
	v_mfma_i32_16x16x32_i8 v[80:83], a[66:67], a[18:19], v[80:83]// 000000003478: D3D70050 1D422542
	v_mfma_i32_16x16x32_i8 v[80:83], a[68:69], a[20:21], v[80:83]// 000000003480: D3D70050 1D422944
	s_add_u32 s60, 0x180, s80                                  // 000000003488: 803C50FF 00000180
	s_cmp_lt_u32 s60, s81                                      // 000000003490: BF0A513C
	s_cselect_b32 s57, s57, 0                                  // 000000003494: 85398039
	v_mfma_i32_16x16x32_i8 v[80:83], a[70:71], a[22:23], v[80:83]// 000000003498: D3D70050 1D422D46
	s_add_u32 s60, 0x100, s80                                  // 0000000034A0: 803C50FF 00000100
	s_cmp_lt_u32 s60, s81                                      // 0000000034A8: BF0A513C
	s_cselect_b32 s58, s58, 0                                  // 0000000034AC: 853A803A
	v_mfma_i32_16x16x32_i8 v[92:95], a[72:73], a[16:17], v[92:95]// 0000000034B0: D3D7005C 1D722148
	s_add_u32 s24, s58, s24                                    // 0000000034B8: 8018183A
	s_addc_u32 s25, 0, s25                                     // 0000000034BC: 82191980
	v_mfma_i32_16x16x32_i8 v[92:95], a[74:75], a[18:19], v[92:95]// 0000000034C0: D3D7005C 1D72254A
	s_add_u32 s20, s57, s20                                    // 0000000034C8: 80141439
	s_addc_u32 s21, 0, s21                                     // 0000000034CC: 82151580
	v_mfma_i32_16x16x32_i8 v[92:95], a[76:77], a[20:21], v[92:95]// 0000000034D0: D3D7005C 1D72294C
	s_add_u32 s84, s83, s84                                    // 0000000034D8: 80545453
	s_addc_u32 s85, 0, s85                                     // 0000000034DC: 82555580
	v_mfma_i32_16x16x32_i8 v[92:95], a[78:79], a[22:23], v[92:95]// 0000000034E0: D3D7005C 1D722D4E
	s_addk_i32 s80, 0x80                                       // 0000000034E8: B7500080
	s_cmp_lt_i32 s80, s81                                      // 0000000034EC: BF045150
	s_cbranch_scc0 label_036A                                  // 0000000034F0: BF8400AD
	s_waitcnt vmcnt(2) lgkmcnt(0)                              // 0000000034F4: BF8C0072
	s_barrier                                                  // 0000000034F8: BF8A0000
	v_mfma_i32_16x16x32_i8 v[48:51], a[48:49], a[24:25], v[48:51]// 0000000034FC: D3D70030 1CC23130
	v_mfma_i32_16x16x32_i8 v[48:51], a[50:51], a[26:27], v[48:51]// 000000003504: D3D70030 1CC23532
	buffer_load_dwordx4 a[64:67], v46, s[84:87], 0 offen       // 00000000350C: E05C1000 8095402E
	v_mfma_i32_16x16x32_i8 v[48:51], a[52:53], a[28:29], v[48:51]// 000000003514: D3D70030 1CC23934
	v_mfma_i32_16x16x32_i8 v[48:51], a[54:55], a[30:31], v[48:51]// 00000000351C: D3D70030 1CC23D36
	v_mfma_i32_16x16x32_i8 v[52:55], a[48:49], a[32:33], v[52:55]// 000000003524: D3D70034 1CD24130
	v_mfma_i32_16x16x32_i8 v[52:55], a[50:51], a[34:35], v[52:55]// 00000000352C: D3D70034 1CD24532
	buffer_load_dwordx4 a[68:71], v46, s[84:87], 0 offen offset:1024// 000000003534: E05C1400 8095442E
	v_mfma_i32_16x16x32_i8 v[52:55], a[52:53], a[36:37], v[52:55]// 00000000353C: D3D70034 1CD24934
	v_mfma_i32_16x16x32_i8 v[52:55], a[54:55], a[38:39], v[52:55]// 000000003544: D3D70034 1CD24D36
	v_mfma_i32_16x16x32_i8 v[56:59], a[48:49], a[40:41], v[56:59]// 00000000354C: D3D70038 1CE25130
	v_mfma_i32_16x16x32_i8 v[56:59], a[50:51], a[42:43], v[56:59]// 000000003554: D3D70038 1CE25532
	buffer_load_dwordx4 a[72:75], v47, s[84:87], 0 offen       // 00000000355C: E05C1000 8095482F
	v_mfma_i32_16x16x32_i8 v[56:59], a[52:53], a[44:45], v[56:59]// 000000003564: D3D70038 1CE25934
	v_mfma_i32_16x16x32_i8 v[56:59], a[54:55], a[46:47], v[56:59]// 00000000356C: D3D70038 1CE25D36
	s_waitcnt vmcnt(3)                                         // 000000003574: BF8C0F73
	v_mfma_i32_16x16x32_i8 v[60:63], a[56:57], a[24:25], v[60:63]// 000000003578: D3D7003C 1CF23138
	v_mfma_i32_16x16x32_i8 v[60:63], a[58:59], a[26:27], v[60:63]// 000000003580: D3D7003C 1CF2353A
	buffer_load_dwordx4 a[76:79], v47, s[84:87], 0 offen offset:1024// 000000003588: E05C1400 80954C2F
	buffer_load_dword v40, s[20:23], 0 offen lds               // 000000003590: E0511000 80050028
	s_add_u32 m0, 0x100, s49                                   // 000000003598: 807C31FF 00000100
	v_mfma_i32_16x16x32_i8 v[60:63], a[60:61], a[28:29], v[60:63]// 0000000035A0: D3D7003C 1CF2393C
	v_mfma_i32_16x16x32_i8 v[60:63], a[62:63], a[30:31], v[60:63]// 0000000035A8: D3D7003C 1CF23D3E
	buffer_load_dword v41, s[20:23], 0 offen lds               // 0000000035B0: E0511000 80050029
	s_add_u32 m0, 0x200, s49                                   // 0000000035B8: 807C31FF 00000200
	v_mfma_i32_16x16x32_i8 v[64:67], a[56:57], a[32:33], v[64:67]// 0000000035C0: D3D70040 1D024138
	v_mfma_i32_16x16x32_i8 v[64:67], a[58:59], a[34:35], v[64:67]// 0000000035C8: D3D70040 1D02453A
	buffer_load_dword v42, s[20:23], 0 offen lds               // 0000000035D0: E0511000 8005002A
	s_add_u32 m0, 0x300, s49                                   // 0000000035D8: 807C31FF 00000300
	v_mfma_i32_16x16x32_i8 v[64:67], a[60:61], a[36:37], v[64:67]// 0000000035E0: D3D70040 1D02493C
	v_mfma_i32_16x16x32_i8 v[64:67], a[62:63], a[38:39], v[64:67]// 0000000035E8: D3D70040 1D024D3E
	buffer_load_dword v43, s[20:23], 0 offen lds               // 0000000035F0: E0511000 8005002B
	s_add_u32 m0, 0x400, s49                                   // 0000000035F8: 807C31FF 00000400
	v_mfma_i32_16x16x32_i8 v[68:71], a[56:57], a[40:41], v[68:71]// 000000003600: D3D70044 1D125138
	v_mfma_i32_16x16x32_i8 v[68:71], a[58:59], a[42:43], v[68:71]// 000000003608: D3D70044 1D12553A
	buffer_load_dword v44, s[20:23], 0 offen lds               // 000000003610: E0511000 8005002C
	s_add_u32 m0, 0x500, s49                                   // 000000003618: 807C31FF 00000500
	s_add_u32 s60, 0x80, s80                                   // 000000003620: 803C50FF 00000080
	s_cmp_lt_u32 s60, s81                                      // 000000003628: BF0A513C
	s_cselect_b32 s83, s83, 0                                  // 00000000362C: 85538053
	v_mfma_i32_16x16x32_i8 v[68:71], a[60:61], a[44:45], v[68:71]// 000000003630: D3D70044 1D12593C
	v_mfma_i32_16x16x32_i8 v[68:71], a[62:63], a[46:47], v[68:71]// 000000003638: D3D70044 1D125D3E
	buffer_load_dword v45, s[20:23], 0 offen lds               // 000000003640: E0511000 8005002D
	s_add_u32 m0, 0, s48                                       // 000000003648: 807C3080
	s_waitcnt vmcnt(6)                                         // 00000000364C: BF8C0F76
	v_mfma_i32_16x16x32_i8 v[72:75], a[64:65], a[24:25], v[72:75]// 000000003650: D3D70048 1D223140
	v_mfma_i32_16x16x32_i8 v[72:75], a[66:67], a[26:27], v[72:75]// 000000003658: D3D70048 1D223542
	buffer_load_dwordx4 a[48:51], v46, s[24:27], 0 offen       // 000000003660: E05C1000 8086302E
	v_mfma_i32_16x16x32_i8 v[72:75], a[68:69], a[28:29], v[72:75]// 000000003668: D3D70048 1D223944
	v_mfma_i32_16x16x32_i8 v[72:75], a[70:71], a[30:31], v[72:75]// 000000003670: D3D70048 1D223D46
	ds_read_b128 a[0:3], v2                                    // 000000003678: DBFE0000 00000002
	ds_read_b128 a[4:7], v2 offset:64                          // 000000003680: DBFE0040 04000002
	v_mfma_i32_16x16x32_i8 v[84:87], a[72:73], a[24:25], v[84:87]// 000000003688: D3D70054 1D523148
	v_mfma_i32_16x16x32_i8 v[84:87], a[74:75], a[26:27], v[84:87]// 000000003690: D3D70054 1D52354A
	buffer_load_dwordx4 a[52:55], v46, s[24:27], 0 offen offset:1024// 000000003698: E05C1400 8086342E
	v_mfma_i32_16x16x32_i8 v[84:87], a[76:77], a[28:29], v[84:87]// 0000000036A0: D3D70054 1D52394C
	v_mfma_i32_16x16x32_i8 v[84:87], a[78:79], a[30:31], v[84:87]// 0000000036A8: D3D70054 1D523D4E
	ds_read_b128 a[8:11], v2 offset:512                        // 0000000036B0: DBFE0200 08000002
	ds_read_b128 a[12:15], v2 offset:576                       // 0000000036B8: DBFE0240 0C000002
	v_mfma_i32_16x16x32_i8 v[76:79], a[64:65], a[32:33], v[76:79]// 0000000036C0: D3D7004C 1D324140
	v_mfma_i32_16x16x32_i8 v[76:79], a[66:67], a[34:35], v[76:79]// 0000000036C8: D3D7004C 1D324542
	buffer_load_dwordx4 a[56:59], v47, s[24:27], 0 offen       // 0000000036D0: E05C1000 8086382F
	v_mfma_i32_16x16x32_i8 v[76:79], a[68:69], a[36:37], v[76:79]// 0000000036D8: D3D7004C 1D324944
	v_mfma_i32_16x16x32_i8 v[76:79], a[70:71], a[38:39], v[76:79]// 0000000036E0: D3D7004C 1D324D46
	ds_read_b128 a[16:19], v2 offset:1024                      // 0000000036E8: DBFE0400 10000002
	ds_read_b128 a[20:23], v2 offset:1088                      // 0000000036F0: DBFE0440 14000002
	v_mfma_i32_16x16x32_i8 v[88:91], a[72:73], a[32:33], v[88:91]// 0000000036F8: D3D70058 1D624148
	v_mfma_i32_16x16x32_i8 v[88:91], a[74:75], a[34:35], v[88:91]// 000000003700: D3D70058 1D62454A
	buffer_load_dwordx4 a[60:63], v47, s[24:27], 0 offen offset:1024// 000000003708: E05C1400 80863C2F
	v_mfma_i32_16x16x32_i8 v[88:91], a[76:77], a[36:37], v[88:91]// 000000003710: D3D70058 1D62494C
	v_mfma_i32_16x16x32_i8 v[88:91], a[78:79], a[38:39], v[88:91]// 000000003718: D3D70058 1D624D4E
	v_mfma_i32_16x16x32_i8 v[80:83], a[64:65], a[40:41], v[80:83]// 000000003720: D3D70050 1D425140
	v_mfma_i32_16x16x32_i8 v[80:83], a[66:67], a[42:43], v[80:83]// 000000003728: D3D70050 1D425542
	v_mfma_i32_16x16x32_i8 v[80:83], a[68:69], a[44:45], v[80:83]// 000000003730: D3D70050 1D425944
	s_add_u32 s60, 0x180, s80                                  // 000000003738: 803C50FF 00000180
	s_cmp_lt_u32 s60, s81                                      // 000000003740: BF0A513C
	s_cselect_b32 s57, s57, 0                                  // 000000003744: 85398039
	v_mfma_i32_16x16x32_i8 v[80:83], a[70:71], a[46:47], v[80:83]// 000000003748: D3D70050 1D425D46
	s_add_u32 s60, 0x100, s80                                  // 000000003750: 803C50FF 00000100
	s_cmp_lt_u32 s60, s81                                      // 000000003758: BF0A513C
	s_cselect_b32 s58, s58, 0                                  // 00000000375C: 853A803A
	v_mfma_i32_16x16x32_i8 v[92:95], a[72:73], a[40:41], v[92:95]// 000000003760: D3D7005C 1D725148
	s_add_u32 s24, s58, s24                                    // 000000003768: 8018183A
	s_addc_u32 s25, 0, s25                                     // 00000000376C: 82191980
	v_mfma_i32_16x16x32_i8 v[92:95], a[74:75], a[42:43], v[92:95]// 000000003770: D3D7005C 1D72554A
	s_add_u32 s20, s57, s20                                    // 000000003778: 80141439
	s_addc_u32 s21, 0, s21                                     // 00000000377C: 82151580
	v_mfma_i32_16x16x32_i8 v[92:95], a[76:77], a[44:45], v[92:95]// 000000003780: D3D7005C 1D72594C
	s_add_u32 s84, s83, s84                                    // 000000003788: 80545453
	s_addc_u32 s85, 0, s85                                     // 00000000378C: 82555580
	v_mfma_i32_16x16x32_i8 v[92:95], a[78:79], a[46:47], v[92:95]// 000000003790: D3D7005C 1D725D4E
	s_addk_i32 s80, 0x80                                       // 000000003798: B7500080
	s_cmp_lt_i32 s80, s81                                      // 00000000379C: BF045150
	s_cbranch_scc0 label_036A                                  // 0000000037A0: BF840001
	s_branch label_0211                                        // 0000000037A4: BF82FEA7

00000000000037a8 <label_036A>:
	v_cvt_f32_i32_e32 v48, v48                                 // 0000000037A8: 7E600B30
	v_cvt_f32_i32_e32 v49, v49                                 // 0000000037AC: 7E620B31
	v_cvt_f32_i32_e32 v50, v50                                 // 0000000037B0: 7E640B32
	v_cvt_f32_i32_e32 v51, v51                                 // 0000000037B4: 7E660B33
	v_mul_f32_dpp v48, v24, v48 row_newbcast:0 row_mask:0xf bank_mask:0xf// 0000000037B8: 0A6060FA FF015018
	v_mul_f32_dpp v49, v24, v49 row_newbcast:1 row_mask:0xf bank_mask:0xf// 0000000037C0: 0A6262FA FF015118
	v_mul_f32_dpp v50, v24, v50 row_newbcast:2 row_mask:0xf bank_mask:0xf// 0000000037C8: 0A6464FA FF015218
	v_mul_f32_dpp v51, v24, v51 row_newbcast:3 row_mask:0xf bank_mask:0xf// 0000000037D0: 0A6666FA FF015318
	v_cvt_f32_i32_e32 v52, v52                                 // 0000000037D8: 7E680B34
	v_cvt_f32_i32_e32 v53, v53                                 // 0000000037DC: 7E6A0B35
	v_cvt_f32_i32_e32 v54, v54                                 // 0000000037E0: 7E6C0B36
	v_cvt_f32_i32_e32 v55, v55                                 // 0000000037E4: 7E6E0B37
	v_mul_f32_dpp v52, v24, v52 row_newbcast:0 row_mask:0xf bank_mask:0xf// 0000000037E8: 0A6868FA FF015018
	v_mul_f32_dpp v53, v24, v53 row_newbcast:1 row_mask:0xf bank_mask:0xf// 0000000037F0: 0A6A6AFA FF015118
	v_mul_f32_dpp v54, v24, v54 row_newbcast:2 row_mask:0xf bank_mask:0xf// 0000000037F8: 0A6C6CFA FF015218
	v_mul_f32_dpp v55, v24, v55 row_newbcast:3 row_mask:0xf bank_mask:0xf// 000000003800: 0A6E6EFA FF015318
	v_cvt_f32_i32_e32 v56, v56                                 // 000000003808: 7E700B38
	v_cvt_f32_i32_e32 v57, v57                                 // 00000000380C: 7E720B39
	v_cvt_f32_i32_e32 v58, v58                                 // 000000003810: 7E740B3A
	v_cvt_f32_i32_e32 v59, v59                                 // 000000003814: 7E760B3B
	v_mul_f32_dpp v56, v24, v56 row_newbcast:0 row_mask:0xf bank_mask:0xf// 000000003818: 0A7070FA FF015018
	v_mul_f32_dpp v57, v24, v57 row_newbcast:1 row_mask:0xf bank_mask:0xf// 000000003820: 0A7272FA FF015118
	v_mul_f32_dpp v58, v24, v58 row_newbcast:2 row_mask:0xf bank_mask:0xf// 000000003828: 0A7474FA FF015218
	v_mul_f32_dpp v59, v24, v59 row_newbcast:3 row_mask:0xf bank_mask:0xf// 000000003830: 0A7676FA FF015318
	v_cvt_f32_i32_e32 v60, v60                                 // 000000003838: 7E780B3C
	v_cvt_f32_i32_e32 v61, v61                                 // 00000000383C: 7E7A0B3D
	v_cvt_f32_i32_e32 v62, v62                                 // 000000003840: 7E7C0B3E
	v_cvt_f32_i32_e32 v63, v63                                 // 000000003844: 7E7E0B3F
	v_mul_f32_dpp v60, v24, v60 row_newbcast:4 row_mask:0xf bank_mask:0xf// 000000003848: 0A7878FA FF015418
	v_mul_f32_dpp v61, v24, v61 row_newbcast:5 row_mask:0xf bank_mask:0xf// 000000003850: 0A7A7AFA FF015518
	v_mul_f32_dpp v62, v24, v62 row_newbcast:6 row_mask:0xf bank_mask:0xf// 000000003858: 0A7C7CFA FF015618
	v_mul_f32_dpp v63, v24, v63 row_newbcast:7 row_mask:0xf bank_mask:0xf// 000000003860: 0A7E7EFA FF015718
	v_cvt_f32_i32_e32 v64, v64                                 // 000000003868: 7E800B40
	v_cvt_f32_i32_e32 v65, v65                                 // 00000000386C: 7E820B41
	v_cvt_f32_i32_e32 v66, v66                                 // 000000003870: 7E840B42
	v_cvt_f32_i32_e32 v67, v67                                 // 000000003874: 7E860B43
	v_mul_f32_dpp v64, v24, v64 row_newbcast:4 row_mask:0xf bank_mask:0xf// 000000003878: 0A8080FA FF015418
	v_mul_f32_dpp v65, v24, v65 row_newbcast:5 row_mask:0xf bank_mask:0xf// 000000003880: 0A8282FA FF015518
	v_mul_f32_dpp v66, v24, v66 row_newbcast:6 row_mask:0xf bank_mask:0xf// 000000003888: 0A8484FA FF015618
	v_mul_f32_dpp v67, v24, v67 row_newbcast:7 row_mask:0xf bank_mask:0xf// 000000003890: 0A8686FA FF015718
	v_cvt_f32_i32_e32 v68, v68                                 // 000000003898: 7E880B44
	v_cvt_f32_i32_e32 v69, v69                                 // 00000000389C: 7E8A0B45
	v_cvt_f32_i32_e32 v70, v70                                 // 0000000038A0: 7E8C0B46
	v_cvt_f32_i32_e32 v71, v71                                 // 0000000038A4: 7E8E0B47
	v_mul_f32_dpp v68, v24, v68 row_newbcast:4 row_mask:0xf bank_mask:0xf// 0000000038A8: 0A8888FA FF015418
	v_mul_f32_dpp v69, v24, v69 row_newbcast:5 row_mask:0xf bank_mask:0xf// 0000000038B0: 0A8A8AFA FF015518
	v_mul_f32_dpp v70, v24, v70 row_newbcast:6 row_mask:0xf bank_mask:0xf// 0000000038B8: 0A8C8CFA FF015618
	v_mul_f32_dpp v71, v24, v71 row_newbcast:7 row_mask:0xf bank_mask:0xf// 0000000038C0: 0A8E8EFA FF015718
	v_cvt_f32_i32_e32 v72, v72                                 // 0000000038C8: 7E900B48
	v_cvt_f32_i32_e32 v73, v73                                 // 0000000038CC: 7E920B49
	v_cvt_f32_i32_e32 v74, v74                                 // 0000000038D0: 7E940B4A
	v_cvt_f32_i32_e32 v75, v75                                 // 0000000038D4: 7E960B4B
	v_mul_f32_dpp v72, v26, v72 row_newbcast:0 row_mask:0xf bank_mask:0xf// 0000000038D8: 0A9090FA FF01501A
	v_mul_f32_dpp v73, v26, v73 row_newbcast:1 row_mask:0xf bank_mask:0xf// 0000000038E0: 0A9292FA FF01511A
	v_mul_f32_dpp v74, v26, v74 row_newbcast:2 row_mask:0xf bank_mask:0xf// 0000000038E8: 0A9494FA FF01521A
	v_mul_f32_dpp v75, v26, v75 row_newbcast:3 row_mask:0xf bank_mask:0xf// 0000000038F0: 0A9696FA FF01531A
	v_cvt_f32_i32_e32 v76, v76                                 // 0000000038F8: 7E980B4C
	v_cvt_f32_i32_e32 v77, v77                                 // 0000000038FC: 7E9A0B4D
	v_cvt_f32_i32_e32 v78, v78                                 // 000000003900: 7E9C0B4E
	v_cvt_f32_i32_e32 v79, v79                                 // 000000003904: 7E9E0B4F
	v_mul_f32_dpp v76, v26, v76 row_newbcast:0 row_mask:0xf bank_mask:0xf// 000000003908: 0A9898FA FF01501A
	v_mul_f32_dpp v77, v26, v77 row_newbcast:1 row_mask:0xf bank_mask:0xf// 000000003910: 0A9A9AFA FF01511A
	v_mul_f32_dpp v78, v26, v78 row_newbcast:2 row_mask:0xf bank_mask:0xf// 000000003918: 0A9C9CFA FF01521A
	v_mul_f32_dpp v79, v26, v79 row_newbcast:3 row_mask:0xf bank_mask:0xf// 000000003920: 0A9E9EFA FF01531A
	v_cvt_f32_i32_e32 v80, v80                                 // 000000003928: 7EA00B50
	v_cvt_f32_i32_e32 v81, v81                                 // 00000000392C: 7EA20B51
	v_cvt_f32_i32_e32 v82, v82                                 // 000000003930: 7EA40B52
	v_cvt_f32_i32_e32 v83, v83                                 // 000000003934: 7EA60B53
	v_mul_f32_dpp v80, v26, v80 row_newbcast:0 row_mask:0xf bank_mask:0xf// 000000003938: 0AA0A0FA FF01501A
	v_mul_f32_dpp v81, v26, v81 row_newbcast:1 row_mask:0xf bank_mask:0xf// 000000003940: 0AA2A2FA FF01511A
	v_mul_f32_dpp v82, v26, v82 row_newbcast:2 row_mask:0xf bank_mask:0xf// 000000003948: 0AA4A4FA FF01521A
	v_mul_f32_dpp v83, v26, v83 row_newbcast:3 row_mask:0xf bank_mask:0xf// 000000003950: 0AA6A6FA FF01531A
	v_cvt_f32_i32_e32 v84, v84                                 // 000000003958: 7EA80B54
	v_cvt_f32_i32_e32 v85, v85                                 // 00000000395C: 7EAA0B55
	v_cvt_f32_i32_e32 v86, v86                                 // 000000003960: 7EAC0B56
	v_cvt_f32_i32_e32 v87, v87                                 // 000000003964: 7EAE0B57
	v_mul_f32_dpp v84, v26, v84 row_newbcast:4 row_mask:0xf bank_mask:0xf// 000000003968: 0AA8A8FA FF01541A
	v_mul_f32_dpp v85, v26, v85 row_newbcast:5 row_mask:0xf bank_mask:0xf// 000000003970: 0AAAAAFA FF01551A
	v_mul_f32_dpp v86, v26, v86 row_newbcast:6 row_mask:0xf bank_mask:0xf// 000000003978: 0AACACFA FF01561A
	v_mul_f32_dpp v87, v26, v87 row_newbcast:7 row_mask:0xf bank_mask:0xf// 000000003980: 0AAEAEFA FF01571A
	v_cvt_f32_i32_e32 v88, v88                                 // 000000003988: 7EB00B58
	v_cvt_f32_i32_e32 v89, v89                                 // 00000000398C: 7EB20B59
	v_cvt_f32_i32_e32 v90, v90                                 // 000000003990: 7EB40B5A
	v_cvt_f32_i32_e32 v91, v91                                 // 000000003994: 7EB60B5B
	v_mul_f32_dpp v88, v26, v88 row_newbcast:4 row_mask:0xf bank_mask:0xf// 000000003998: 0AB0B0FA FF01541A
	v_mul_f32_dpp v89, v26, v89 row_newbcast:5 row_mask:0xf bank_mask:0xf// 0000000039A0: 0AB2B2FA FF01551A
	v_mul_f32_dpp v90, v26, v90 row_newbcast:6 row_mask:0xf bank_mask:0xf// 0000000039A8: 0AB4B4FA FF01561A
	v_mul_f32_dpp v91, v26, v91 row_newbcast:7 row_mask:0xf bank_mask:0xf// 0000000039B0: 0AB6B6FA FF01571A
	v_cvt_f32_i32_e32 v92, v92                                 // 0000000039B8: 7EB80B5C
	v_cvt_f32_i32_e32 v93, v93                                 // 0000000039BC: 7EBA0B5D
	v_cvt_f32_i32_e32 v94, v94                                 // 0000000039C0: 7EBC0B5E
	v_cvt_f32_i32_e32 v95, v95                                 // 0000000039C4: 7EBE0B5F
	v_mul_f32_dpp v92, v26, v92 row_newbcast:4 row_mask:0xf bank_mask:0xf// 0000000039C8: 0AB8B8FA FF01541A
	v_mul_f32_dpp v93, v26, v93 row_newbcast:5 row_mask:0xf bank_mask:0xf// 0000000039D0: 0ABABAFA FF01551A
	v_mul_f32_dpp v94, v26, v94 row_newbcast:6 row_mask:0xf bank_mask:0xf// 0000000039D8: 0ABCBCFA FF01561A
	v_mul_f32_dpp v95, v26, v95 row_newbcast:7 row_mask:0xf bank_mask:0xf// 0000000039E0: 0ABEBEFA FF01571A
	v_mov_b32_e32 v4, v31                                      // 0000000039E8: 7E08031F
	v_mov_b32_e32 v5, v4                                       // 0000000039EC: 7E0A0304
	v_pk_mul_f32 v[48:49], v[4:5], v[48:49]                    // 0000000039F0: D3B14030 18026104
	v_pk_mul_f32 v[72:73], v[4:5], v[72:73]                    // 0000000039F8: D3B14048 18029104
	v_pk_mul_f32 v[50:51], v[4:5], v[50:51]                    // 000000003A00: D3B14032 18026504
	v_pk_mul_f32 v[74:75], v[4:5], v[74:75]                    // 000000003A08: D3B1404A 18029504
	v_pk_mul_f32 v[60:61], v[4:5], v[60:61]                    // 000000003A10: D3B1403C 18027904
	v_pk_mul_f32 v[84:85], v[4:5], v[84:85]                    // 000000003A18: D3B14054 1802A904
	v_pk_mul_f32 v[62:63], v[4:5], v[62:63]                    // 000000003A20: D3B1403E 18027D04
	v_pk_mul_f32 v[86:87], v[4:5], v[86:87]                    // 000000003A28: D3B14056 1802AD04
	v_mov_b32_e32 v4, v32                                      // 000000003A30: 7E080320
	v_mov_b32_e32 v5, v4                                       // 000000003A34: 7E0A0304
	v_pk_mul_f32 v[52:53], v[4:5], v[52:53]                    // 000000003A38: D3B14034 18026904
	v_pk_mul_f32 v[76:77], v[4:5], v[76:77]                    // 000000003A40: D3B1404C 18029904
	v_pk_mul_f32 v[54:55], v[4:5], v[54:55]                    // 000000003A48: D3B14036 18026D04
	v_pk_mul_f32 v[78:79], v[4:5], v[78:79]                    // 000000003A50: D3B1404E 18029D04
	v_pk_mul_f32 v[64:65], v[4:5], v[64:65]                    // 000000003A58: D3B14040 18028104
	v_pk_mul_f32 v[88:89], v[4:5], v[88:89]                    // 000000003A60: D3B14058 1802B104
	v_pk_mul_f32 v[66:67], v[4:5], v[66:67]                    // 000000003A68: D3B14042 18028504
	v_pk_mul_f32 v[90:91], v[4:5], v[90:91]                    // 000000003A70: D3B1405A 1802B504
	v_mov_b32_e32 v4, v33                                      // 000000003A78: 7E080321
	v_mov_b32_e32 v5, v4                                       // 000000003A7C: 7E0A0304
	v_pk_mul_f32 v[56:57], v[4:5], v[56:57]                    // 000000003A80: D3B14038 18027104
	v_pk_mul_f32 v[80:81], v[4:5], v[80:81]                    // 000000003A88: D3B14050 1802A104
	v_pk_mul_f32 v[58:59], v[4:5], v[58:59]                    // 000000003A90: D3B1403A 18027504
	v_pk_mul_f32 v[82:83], v[4:5], v[82:83]                    // 000000003A98: D3B14052 1802A504
	v_pk_mul_f32 v[68:69], v[4:5], v[68:69]                    // 000000003AA0: D3B14044 18028904
	v_pk_mul_f32 v[92:93], v[4:5], v[92:93]                    // 000000003AA8: D3B1405C 1802B904
	v_pk_mul_f32 v[70:71], v[4:5], v[70:71]                    // 000000003AB0: D3B14046 18028D04
	v_pk_mul_f32 v[94:95], v[4:5], v[94:95]                    // 000000003AB8: D3B1405E 1802BD04
	s_cmp_eq_u32 s88, 0                                        // 000000003AC0: BF068058
	s_cbranch_scc0 label_07CB                                  // 000000003AC4: BF840399
	s_cmp_eq_u32 s89, 0                                        // 000000003AC8: BF068059
	s_cbranch_scc1 label_0529                                  // 000000003ACC: BF8500F5
	v_mov_b32_e32 v8, v1                                       // 000000003AD0: 7E100301
	v_mov_b32_e32 v9, v1                                       // 000000003AD4: 7E120301
	s_mov_b32 s60, s6                                          // 000000003AD8: BEBC0006
	s_mov_b32 s61, s6                                          // 000000003ADC: BEBD0006
	v_pk_mul_f32 v[4:5], v[48:49], v[48:49]                    // 000000003AE0: D3B14004 18026130
	v_pk_mul_f32 v[6:7], v[50:51], v[50:51]                    // 000000003AE8: D3B14006 18026532
	v_pk_fma_f32 v[4:5], v[4:5], s[78:79], v[8:9]              // 000000003AF0: D3B04004 1C209D04
	v_pk_fma_f32 v[6:7], v[6:7], s[78:79], v[8:9]              // 000000003AF8: D3B04006 1C209D06
	v_pk_mul_f32 v[4:5], v[4:5], v[48:49]                      // 000000003B00: D3B14004 18026104
	v_pk_mul_f32 v[6:7], v[6:7], v[50:51]                      // 000000003B08: D3B14006 18026506
	v_pk_mul_f32 v[4:5], v[4:5], s[60:61]                      // 000000003B10: D3B14004 18007904
	v_pk_mul_f32 v[6:7], v[6:7], s[60:61]                      // 000000003B18: D3B14006 18007906
	v_exp_f32_e32 v4, v4                                       // 000000003B20: 7E084104
	v_exp_f32_e32 v5, v5                                       // 000000003B24: 7E0A4105
	v_exp_f32_e32 v6, v6                                       // 000000003B28: 7E0C4106
	v_exp_f32_e32 v7, v7                                       // 000000003B2C: 7E0E4107
	v_add_f32_e64 v4, v4, 1.0                                  // 000000003B30: D1010004 0001E504
	v_add_f32_e64 v5, v5, 1.0                                  // 000000003B38: D1010005 0001E505
	v_add_f32_e64 v6, v6, 1.0                                  // 000000003B40: D1010006 0001E506
	v_add_f32_e64 v7, v7, 1.0                                  // 000000003B48: D1010007 0001E507
	v_rcp_f32_e32 v4, v4                                       // 000000003B50: 7E084504
	v_rcp_f32_e32 v5, v5                                       // 000000003B54: 7E0A4505
	v_rcp_f32_e32 v6, v6                                       // 000000003B58: 7E0C4506
	v_rcp_f32_e32 v7, v7                                       // 000000003B5C: 7E0E4507
	v_mul_f32_e32 v48, v48, v4                                 // 000000003B60: 0A600930
	v_mul_f32_e32 v49, v49, v5                                 // 000000003B64: 0A620B31
	v_mul_f32_e32 v50, v50, v6                                 // 000000003B68: 0A640D32
	v_mul_f32_e32 v51, v51, v7                                 // 000000003B6C: 0A660F33
	v_mul_f32_e32 v48, v48, v72                                // 000000003B70: 0A609130
	v_mul_f32_e32 v49, v49, v73                                // 000000003B74: 0A629331
	v_mul_f32_e32 v50, v50, v74                                // 000000003B78: 0A649532
	v_mul_f32_e32 v51, v51, v75                                // 000000003B7C: 0A669733
	v_pk_mul_f32 v[4:5], v[52:53], v[52:53]                    // 000000003B80: D3B14004 18026934
	v_pk_mul_f32 v[6:7], v[54:55], v[54:55]                    // 000000003B88: D3B14006 18026D36
	v_pk_fma_f32 v[4:5], v[4:5], s[78:79], v[8:9]              // 000000003B90: D3B04004 1C209D04
	v_pk_fma_f32 v[6:7], v[6:7], s[78:79], v[8:9]              // 000000003B98: D3B04006 1C209D06
	v_pk_mul_f32 v[4:5], v[4:5], v[52:53]                      // 000000003BA0: D3B14004 18026904
	v_pk_mul_f32 v[6:7], v[6:7], v[54:55]                      // 000000003BA8: D3B14006 18026D06
	v_pk_mul_f32 v[4:5], v[4:5], s[60:61]                      // 000000003BB0: D3B14004 18007904
	v_pk_mul_f32 v[6:7], v[6:7], s[60:61]                      // 000000003BB8: D3B14006 18007906
	v_exp_f32_e32 v4, v4                                       // 000000003BC0: 7E084104
	v_exp_f32_e32 v5, v5                                       // 000000003BC4: 7E0A4105
	v_exp_f32_e32 v6, v6                                       // 000000003BC8: 7E0C4106
	v_exp_f32_e32 v7, v7                                       // 000000003BCC: 7E0E4107
	v_add_f32_e64 v4, v4, 1.0                                  // 000000003BD0: D1010004 0001E504
	v_add_f32_e64 v5, v5, 1.0                                  // 000000003BD8: D1010005 0001E505
	v_add_f32_e64 v6, v6, 1.0                                  // 000000003BE0: D1010006 0001E506
	v_add_f32_e64 v7, v7, 1.0                                  // 000000003BE8: D1010007 0001E507
	v_rcp_f32_e32 v4, v4                                       // 000000003BF0: 7E084504
	v_rcp_f32_e32 v5, v5                                       // 000000003BF4: 7E0A4505
	v_rcp_f32_e32 v6, v6                                       // 000000003BF8: 7E0C4506
	v_rcp_f32_e32 v7, v7                                       // 000000003BFC: 7E0E4507
	v_mul_f32_e32 v52, v52, v4                                 // 000000003C00: 0A680934
	v_mul_f32_e32 v53, v53, v5                                 // 000000003C04: 0A6A0B35
	v_mul_f32_e32 v54, v54, v6                                 // 000000003C08: 0A6C0D36
	v_mul_f32_e32 v55, v55, v7                                 // 000000003C0C: 0A6E0F37
	v_mul_f32_e32 v52, v52, v76                                // 000000003C10: 0A689934
	v_mul_f32_e32 v53, v53, v77                                // 000000003C14: 0A6A9B35
	v_mul_f32_e32 v54, v54, v78                                // 000000003C18: 0A6C9D36
	v_mul_f32_e32 v55, v55, v79                                // 000000003C1C: 0A6E9F37
	v_pk_mul_f32 v[4:5], v[56:57], v[56:57]                    // 000000003C20: D3B14004 18027138
	v_pk_mul_f32 v[6:7], v[58:59], v[58:59]                    // 000000003C28: D3B14006 1802753A
	v_pk_fma_f32 v[4:5], v[4:5], s[78:79], v[8:9]              // 000000003C30: D3B04004 1C209D04
	v_pk_fma_f32 v[6:7], v[6:7], s[78:79], v[8:9]              // 000000003C38: D3B04006 1C209D06
	v_pk_mul_f32 v[4:5], v[4:5], v[56:57]                      // 000000003C40: D3B14004 18027104
	v_pk_mul_f32 v[6:7], v[6:7], v[58:59]                      // 000000003C48: D3B14006 18027506
	v_pk_mul_f32 v[4:5], v[4:5], s[60:61]                      // 000000003C50: D3B14004 18007904
	v_pk_mul_f32 v[6:7], v[6:7], s[60:61]                      // 000000003C58: D3B14006 18007906
	v_exp_f32_e32 v4, v4                                       // 000000003C60: 7E084104
	v_exp_f32_e32 v5, v5                                       // 000000003C64: 7E0A4105
	v_exp_f32_e32 v6, v6                                       // 000000003C68: 7E0C4106
	v_exp_f32_e32 v7, v7                                       // 000000003C6C: 7E0E4107
	v_add_f32_e64 v4, v4, 1.0                                  // 000000003C70: D1010004 0001E504
	v_add_f32_e64 v5, v5, 1.0                                  // 000000003C78: D1010005 0001E505
	v_add_f32_e64 v6, v6, 1.0                                  // 000000003C80: D1010006 0001E506
	v_add_f32_e64 v7, v7, 1.0                                  // 000000003C88: D1010007 0001E507
	v_rcp_f32_e32 v4, v4                                       // 000000003C90: 7E084504
	v_rcp_f32_e32 v5, v5                                       // 000000003C94: 7E0A4505
	v_rcp_f32_e32 v6, v6                                       // 000000003C98: 7E0C4506
	v_rcp_f32_e32 v7, v7                                       // 000000003C9C: 7E0E4507
	v_mul_f32_e32 v56, v56, v4                                 // 000000003CA0: 0A700938
	v_mul_f32_e32 v57, v57, v5                                 // 000000003CA4: 0A720B39
	v_mul_f32_e32 v58, v58, v6                                 // 000000003CA8: 0A740D3A
	v_mul_f32_e32 v59, v59, v7                                 // 000000003CAC: 0A760F3B
	v_mul_f32_e32 v56, v56, v80                                // 000000003CB0: 0A70A138
	v_mul_f32_e32 v57, v57, v81                                // 000000003CB4: 0A72A339
	v_mul_f32_e32 v58, v58, v82                                // 000000003CB8: 0A74A53A
	v_mul_f32_e32 v59, v59, v83                                // 000000003CBC: 0A76A73B
	v_pk_mul_f32 v[4:5], v[60:61], v[60:61]                    // 000000003CC0: D3B14004 1802793C
	v_pk_mul_f32 v[6:7], v[62:63], v[62:63]                    // 000000003CC8: D3B14006 18027D3E
	v_pk_fma_f32 v[4:5], v[4:5], s[78:79], v[8:9]              // 000000003CD0: D3B04004 1C209D04
	v_pk_fma_f32 v[6:7], v[6:7], s[78:79], v[8:9]              // 000000003CD8: D3B04006 1C209D06
	v_pk_mul_f32 v[4:5], v[4:5], v[60:61]                      // 000000003CE0: D3B14004 18027904
	v_pk_mul_f32 v[6:7], v[6:7], v[62:63]                      // 000000003CE8: D3B14006 18027D06
	v_pk_mul_f32 v[4:5], v[4:5], s[60:61]                      // 000000003CF0: D3B14004 18007904
	v_pk_mul_f32 v[6:7], v[6:7], s[60:61]                      // 000000003CF8: D3B14006 18007906
	v_exp_f32_e32 v4, v4                                       // 000000003D00: 7E084104
	v_exp_f32_e32 v5, v5                                       // 000000003D04: 7E0A4105
	v_exp_f32_e32 v6, v6                                       // 000000003D08: 7E0C4106
	v_exp_f32_e32 v7, v7                                       // 000000003D0C: 7E0E4107
	v_add_f32_e64 v4, v4, 1.0                                  // 000000003D10: D1010004 0001E504
	v_add_f32_e64 v5, v5, 1.0                                  // 000000003D18: D1010005 0001E505
	v_add_f32_e64 v6, v6, 1.0                                  // 000000003D20: D1010006 0001E506
	v_add_f32_e64 v7, v7, 1.0                                  // 000000003D28: D1010007 0001E507
	v_rcp_f32_e32 v4, v4                                       // 000000003D30: 7E084504
	v_rcp_f32_e32 v5, v5                                       // 000000003D34: 7E0A4505
	v_rcp_f32_e32 v6, v6                                       // 000000003D38: 7E0C4506
	v_rcp_f32_e32 v7, v7                                       // 000000003D3C: 7E0E4507
	v_mul_f32_e32 v60, v60, v4                                 // 000000003D40: 0A78093C
	v_mul_f32_e32 v61, v61, v5                                 // 000000003D44: 0A7A0B3D
	v_mul_f32_e32 v62, v62, v6                                 // 000000003D48: 0A7C0D3E
	v_mul_f32_e32 v63, v63, v7                                 // 000000003D4C: 0A7E0F3F
	v_mul_f32_e32 v60, v60, v84                                // 000000003D50: 0A78A93C
	v_mul_f32_e32 v61, v61, v85                                // 000000003D54: 0A7AAB3D
	v_mul_f32_e32 v62, v62, v86                                // 000000003D58: 0A7CAD3E
	v_mul_f32_e32 v63, v63, v87                                // 000000003D5C: 0A7EAF3F
	v_pk_mul_f32 v[4:5], v[64:65], v[64:65]                    // 000000003D60: D3B14004 18028140
	v_pk_mul_f32 v[6:7], v[66:67], v[66:67]                    // 000000003D68: D3B14006 18028542
	v_pk_fma_f32 v[4:5], v[4:5], s[78:79], v[8:9]              // 000000003D70: D3B04004 1C209D04
	v_pk_fma_f32 v[6:7], v[6:7], s[78:79], v[8:9]              // 000000003D78: D3B04006 1C209D06
	v_pk_mul_f32 v[4:5], v[4:5], v[64:65]                      // 000000003D80: D3B14004 18028104
	v_pk_mul_f32 v[6:7], v[6:7], v[66:67]                      // 000000003D88: D3B14006 18028506
	v_pk_mul_f32 v[4:5], v[4:5], s[60:61]                      // 000000003D90: D3B14004 18007904
	v_pk_mul_f32 v[6:7], v[6:7], s[60:61]                      // 000000003D98: D3B14006 18007906
	v_exp_f32_e32 v4, v4                                       // 000000003DA0: 7E084104
	v_exp_f32_e32 v5, v5                                       // 000000003DA4: 7E0A4105
	v_exp_f32_e32 v6, v6                                       // 000000003DA8: 7E0C4106
	v_exp_f32_e32 v7, v7                                       // 000000003DAC: 7E0E4107
	v_add_f32_e64 v4, v4, 1.0                                  // 000000003DB0: D1010004 0001E504
	v_add_f32_e64 v5, v5, 1.0                                  // 000000003DB8: D1010005 0001E505
	v_add_f32_e64 v6, v6, 1.0                                  // 000000003DC0: D1010006 0001E506
	v_add_f32_e64 v7, v7, 1.0                                  // 000000003DC8: D1010007 0001E507
	v_rcp_f32_e32 v4, v4                                       // 000000003DD0: 7E084504
	v_rcp_f32_e32 v5, v5                                       // 000000003DD4: 7E0A4505
	v_rcp_f32_e32 v6, v6                                       // 000000003DD8: 7E0C4506
	v_rcp_f32_e32 v7, v7                                       // 000000003DDC: 7E0E4507
	v_mul_f32_e32 v64, v64, v4                                 // 000000003DE0: 0A800940
	v_mul_f32_e32 v65, v65, v5                                 // 000000003DE4: 0A820B41
	v_mul_f32_e32 v66, v66, v6                                 // 000000003DE8: 0A840D42
	v_mul_f32_e32 v67, v67, v7                                 // 000000003DEC: 0A860F43
	v_mul_f32_e32 v64, v64, v88                                // 000000003DF0: 0A80B140
	v_mul_f32_e32 v65, v65, v89                                // 000000003DF4: 0A82B341
	v_mul_f32_e32 v66, v66, v90                                // 000000003DF8: 0A84B542
	v_mul_f32_e32 v67, v67, v91                                // 000000003DFC: 0A86B743
	v_pk_mul_f32 v[4:5], v[68:69], v[68:69]                    // 000000003E00: D3B14004 18028944
	v_pk_mul_f32 v[6:7], v[70:71], v[70:71]                    // 000000003E08: D3B14006 18028D46
	v_pk_fma_f32 v[4:5], v[4:5], s[78:79], v[8:9]              // 000000003E10: D3B04004 1C209D04
	v_pk_fma_f32 v[6:7], v[6:7], s[78:79], v[8:9]              // 000000003E18: D3B04006 1C209D06
	v_pk_mul_f32 v[4:5], v[4:5], v[68:69]                      // 000000003E20: D3B14004 18028904
	v_pk_mul_f32 v[6:7], v[6:7], v[70:71]                      // 000000003E28: D3B14006 18028D06
	v_pk_mul_f32 v[4:5], v[4:5], s[60:61]                      // 000000003E30: D3B14004 18007904
	v_pk_mul_f32 v[6:7], v[6:7], s[60:61]                      // 000000003E38: D3B14006 18007906
	v_exp_f32_e32 v4, v4                                       // 000000003E40: 7E084104
	v_exp_f32_e32 v5, v5                                       // 000000003E44: 7E0A4105
	v_exp_f32_e32 v6, v6                                       // 000000003E48: 7E0C4106
	v_exp_f32_e32 v7, v7                                       // 000000003E4C: 7E0E4107
	v_add_f32_e64 v4, v4, 1.0                                  // 000000003E50: D1010004 0001E504
	v_add_f32_e64 v5, v5, 1.0                                  // 000000003E58: D1010005 0001E505
	v_add_f32_e64 v6, v6, 1.0                                  // 000000003E60: D1010006 0001E506
	v_add_f32_e64 v7, v7, 1.0                                  // 000000003E68: D1010007 0001E507
	v_rcp_f32_e32 v4, v4                                       // 000000003E70: 7E084504
	v_rcp_f32_e32 v5, v5                                       // 000000003E74: 7E0A4505
	v_rcp_f32_e32 v6, v6                                       // 000000003E78: 7E0C4506
	v_rcp_f32_e32 v7, v7                                       // 000000003E7C: 7E0E4507
	v_mul_f32_e32 v68, v68, v4                                 // 000000003E80: 0A880944
	v_mul_f32_e32 v69, v69, v5                                 // 000000003E84: 0A8A0B45
	v_mul_f32_e32 v70, v70, v6                                 // 000000003E88: 0A8C0D46
	v_mul_f32_e32 v71, v71, v7                                 // 000000003E8C: 0A8E0F47
	v_mul_f32_e32 v68, v68, v92                                // 000000003E90: 0A88B944
	v_mul_f32_e32 v69, v69, v93                                // 000000003E94: 0A8ABB45
	v_mul_f32_e32 v70, v70, v94                                // 000000003E98: 0A8CBD46
	v_mul_f32_e32 v71, v71, v95                                // 000000003E9C: 0A8EBF47
	s_branch label_05E9                                        // 000000003EA0: BF8200C0

0000000000003ea4 <label_0529>:
	v_mul_f32_e64 v4, -v48, s6                                 // 000000003EA4: D1050004 20000D30
	v_mul_f32_e64 v5, -v49, s6                                 // 000000003EAC: D1050005 20000D31
	v_mul_f32_e64 v6, -v50, s6                                 // 000000003EB4: D1050006 20000D32
	v_mul_f32_e64 v7, -v51, s6                                 // 000000003EBC: D1050007 20000D33
	v_exp_f32_e32 v4, v4                                       // 000000003EC4: 7E084104
	v_exp_f32_e32 v5, v5                                       // 000000003EC8: 7E0A4105
	v_exp_f32_e32 v6, v6                                       // 000000003ECC: 7E0C4106
	v_exp_f32_e32 v7, v7                                       // 000000003ED0: 7E0E4107
	v_add_f32_e64 v4, v4, 1.0                                  // 000000003ED4: D1010004 0001E504
	v_add_f32_e64 v5, v5, 1.0                                  // 000000003EDC: D1010005 0001E505
	v_add_f32_e64 v6, v6, 1.0                                  // 000000003EE4: D1010006 0001E506
	v_add_f32_e64 v7, v7, 1.0                                  // 000000003EEC: D1010007 0001E507
	v_rcp_f32_e32 v4, v4                                       // 000000003EF4: 7E084504
	v_rcp_f32_e32 v5, v5                                       // 000000003EF8: 7E0A4505
	v_rcp_f32_e32 v6, v6                                       // 000000003EFC: 7E0C4506
	v_rcp_f32_e32 v7, v7                                       // 000000003F00: 7E0E4507
	v_mul_f32_e32 v48, v48, v4                                 // 000000003F04: 0A600930
	v_mul_f32_e32 v49, v49, v5                                 // 000000003F08: 0A620B31
	v_mul_f32_e32 v50, v50, v6                                 // 000000003F0C: 0A640D32
	v_mul_f32_e32 v51, v51, v7                                 // 000000003F10: 0A660F33
	v_mul_f32_e32 v48, v48, v72                                // 000000003F14: 0A609130
	v_mul_f32_e32 v49, v49, v73                                // 000000003F18: 0A629331
	v_mul_f32_e32 v50, v50, v74                                // 000000003F1C: 0A649532
	v_mul_f32_e32 v51, v51, v75                                // 000000003F20: 0A669733
	v_mul_f32_e64 v4, -v52, s6                                 // 000000003F24: D1050004 20000D34
	v_mul_f32_e64 v5, -v53, s6                                 // 000000003F2C: D1050005 20000D35
	v_mul_f32_e64 v6, -v54, s6                                 // 000000003F34: D1050006 20000D36
	v_mul_f32_e64 v7, -v55, s6                                 // 000000003F3C: D1050007 20000D37
	v_exp_f32_e32 v4, v4                                       // 000000003F44: 7E084104
	v_exp_f32_e32 v5, v5                                       // 000000003F48: 7E0A4105
	v_exp_f32_e32 v6, v6                                       // 000000003F4C: 7E0C4106
	v_exp_f32_e32 v7, v7                                       // 000000003F50: 7E0E4107
	v_add_f32_e64 v4, v4, 1.0                                  // 000000003F54: D1010004 0001E504
	v_add_f32_e64 v5, v5, 1.0                                  // 000000003F5C: D1010005 0001E505
	v_add_f32_e64 v6, v6, 1.0                                  // 000000003F64: D1010006 0001E506
	v_add_f32_e64 v7, v7, 1.0                                  // 000000003F6C: D1010007 0001E507
	v_rcp_f32_e32 v4, v4                                       // 000000003F74: 7E084504
	v_rcp_f32_e32 v5, v5                                       // 000000003F78: 7E0A4505
	v_rcp_f32_e32 v6, v6                                       // 000000003F7C: 7E0C4506
	v_rcp_f32_e32 v7, v7                                       // 000000003F80: 7E0E4507
	v_mul_f32_e32 v52, v52, v4                                 // 000000003F84: 0A680934
	v_mul_f32_e32 v53, v53, v5                                 // 000000003F88: 0A6A0B35
	v_mul_f32_e32 v54, v54, v6                                 // 000000003F8C: 0A6C0D36
	v_mul_f32_e32 v55, v55, v7                                 // 000000003F90: 0A6E0F37
	v_mul_f32_e32 v52, v52, v76                                // 000000003F94: 0A689934
	v_mul_f32_e32 v53, v53, v77                                // 000000003F98: 0A6A9B35
	v_mul_f32_e32 v54, v54, v78                                // 000000003F9C: 0A6C9D36
	v_mul_f32_e32 v55, v55, v79                                // 000000003FA0: 0A6E9F37
	v_mul_f32_e64 v4, -v56, s6                                 // 000000003FA4: D1050004 20000D38
	v_mul_f32_e64 v5, -v57, s6                                 // 000000003FAC: D1050005 20000D39
	v_mul_f32_e64 v6, -v58, s6                                 // 000000003FB4: D1050006 20000D3A
	v_mul_f32_e64 v7, -v59, s6                                 // 000000003FBC: D1050007 20000D3B
	v_exp_f32_e32 v4, v4                                       // 000000003FC4: 7E084104
	v_exp_f32_e32 v5, v5                                       // 000000003FC8: 7E0A4105
	v_exp_f32_e32 v6, v6                                       // 000000003FCC: 7E0C4106
	v_exp_f32_e32 v7, v7                                       // 000000003FD0: 7E0E4107
	v_add_f32_e64 v4, v4, 1.0                                  // 000000003FD4: D1010004 0001E504
	v_add_f32_e64 v5, v5, 1.0                                  // 000000003FDC: D1010005 0001E505
	v_add_f32_e64 v6, v6, 1.0                                  // 000000003FE4: D1010006 0001E506
	v_add_f32_e64 v7, v7, 1.0                                  // 000000003FEC: D1010007 0001E507
	v_rcp_f32_e32 v4, v4                                       // 000000003FF4: 7E084504
	v_rcp_f32_e32 v5, v5                                       // 000000003FF8: 7E0A4505
	v_rcp_f32_e32 v6, v6                                       // 000000003FFC: 7E0C4506
	v_rcp_f32_e32 v7, v7                                       // 000000004000: 7E0E4507
	v_mul_f32_e32 v56, v56, v4                                 // 000000004004: 0A700938
	v_mul_f32_e32 v57, v57, v5                                 // 000000004008: 0A720B39
	v_mul_f32_e32 v58, v58, v6                                 // 00000000400C: 0A740D3A
	v_mul_f32_e32 v59, v59, v7                                 // 000000004010: 0A760F3B
	v_mul_f32_e32 v56, v56, v80                                // 000000004014: 0A70A138
	v_mul_f32_e32 v57, v57, v81                                // 000000004018: 0A72A339
	v_mul_f32_e32 v58, v58, v82                                // 00000000401C: 0A74A53A
	v_mul_f32_e32 v59, v59, v83                                // 000000004020: 0A76A73B
	v_mul_f32_e64 v4, -v60, s6                                 // 000000004024: D1050004 20000D3C
	v_mul_f32_e64 v5, -v61, s6                                 // 00000000402C: D1050005 20000D3D
	v_mul_f32_e64 v6, -v62, s6                                 // 000000004034: D1050006 20000D3E
	v_mul_f32_e64 v7, -v63, s6                                 // 00000000403C: D1050007 20000D3F
	v_exp_f32_e32 v4, v4                                       // 000000004044: 7E084104
	v_exp_f32_e32 v5, v5                                       // 000000004048: 7E0A4105
	v_exp_f32_e32 v6, v6                                       // 00000000404C: 7E0C4106
	v_exp_f32_e32 v7, v7                                       // 000000004050: 7E0E4107
	v_add_f32_e64 v4, v4, 1.0                                  // 000000004054: D1010004 0001E504
	v_add_f32_e64 v5, v5, 1.0                                  // 00000000405C: D1010005 0001E505
	v_add_f32_e64 v6, v6, 1.0                                  // 000000004064: D1010006 0001E506
	v_add_f32_e64 v7, v7, 1.0                                  // 00000000406C: D1010007 0001E507
	v_rcp_f32_e32 v4, v4                                       // 000000004074: 7E084504
	v_rcp_f32_e32 v5, v5                                       // 000000004078: 7E0A4505
	v_rcp_f32_e32 v6, v6                                       // 00000000407C: 7E0C4506
	v_rcp_f32_e32 v7, v7                                       // 000000004080: 7E0E4507
	v_mul_f32_e32 v60, v60, v4                                 // 000000004084: 0A78093C
	v_mul_f32_e32 v61, v61, v5                                 // 000000004088: 0A7A0B3D
	v_mul_f32_e32 v62, v62, v6                                 // 00000000408C: 0A7C0D3E
	v_mul_f32_e32 v63, v63, v7                                 // 000000004090: 0A7E0F3F
	v_mul_f32_e32 v60, v60, v84                                // 000000004094: 0A78A93C
	v_mul_f32_e32 v61, v61, v85                                // 000000004098: 0A7AAB3D
	v_mul_f32_e32 v62, v62, v86                                // 00000000409C: 0A7CAD3E
	v_mul_f32_e32 v63, v63, v87                                // 0000000040A0: 0A7EAF3F
	v_mul_f32_e64 v4, -v64, s6                                 // 0000000040A4: D1050004 20000D40
	v_mul_f32_e64 v5, -v65, s6                                 // 0000000040AC: D1050005 20000D41
	v_mul_f32_e64 v6, -v66, s6                                 // 0000000040B4: D1050006 20000D42
	v_mul_f32_e64 v7, -v67, s6                                 // 0000000040BC: D1050007 20000D43
	v_exp_f32_e32 v4, v4                                       // 0000000040C4: 7E084104
	v_exp_f32_e32 v5, v5                                       // 0000000040C8: 7E0A4105
	v_exp_f32_e32 v6, v6                                       // 0000000040CC: 7E0C4106
	v_exp_f32_e32 v7, v7                                       // 0000000040D0: 7E0E4107
	v_add_f32_e64 v4, v4, 1.0                                  // 0000000040D4: D1010004 0001E504
	v_add_f32_e64 v5, v5, 1.0                                  // 0000000040DC: D1010005 0001E505
	v_add_f32_e64 v6, v6, 1.0                                  // 0000000040E4: D1010006 0001E506
	v_add_f32_e64 v7, v7, 1.0                                  // 0000000040EC: D1010007 0001E507
	v_rcp_f32_e32 v4, v4                                       // 0000000040F4: 7E084504
	v_rcp_f32_e32 v5, v5                                       // 0000000040F8: 7E0A4505
	v_rcp_f32_e32 v6, v6                                       // 0000000040FC: 7E0C4506
	v_rcp_f32_e32 v7, v7                                       // 000000004100: 7E0E4507
	v_mul_f32_e32 v64, v64, v4                                 // 000000004104: 0A800940
	v_mul_f32_e32 v65, v65, v5                                 // 000000004108: 0A820B41
	v_mul_f32_e32 v66, v66, v6                                 // 00000000410C: 0A840D42
	v_mul_f32_e32 v67, v67, v7                                 // 000000004110: 0A860F43
	v_mul_f32_e32 v64, v64, v88                                // 000000004114: 0A80B140
	v_mul_f32_e32 v65, v65, v89                                // 000000004118: 0A82B341
	v_mul_f32_e32 v66, v66, v90                                // 00000000411C: 0A84B542
	v_mul_f32_e32 v67, v67, v91                                // 000000004120: 0A86B743
	v_mul_f32_e64 v4, -v68, s6                                 // 000000004124: D1050004 20000D44
	v_mul_f32_e64 v5, -v69, s6                                 // 00000000412C: D1050005 20000D45
	v_mul_f32_e64 v6, -v70, s6                                 // 000000004134: D1050006 20000D46
	v_mul_f32_e64 v7, -v71, s6                                 // 00000000413C: D1050007 20000D47
	v_exp_f32_e32 v4, v4                                       // 000000004144: 7E084104
	v_exp_f32_e32 v5, v5                                       // 000000004148: 7E0A4105
	v_exp_f32_e32 v6, v6                                       // 00000000414C: 7E0C4106
	v_exp_f32_e32 v7, v7                                       // 000000004150: 7E0E4107
	v_add_f32_e64 v4, v4, 1.0                                  // 000000004154: D1010004 0001E504
	v_add_f32_e64 v5, v5, 1.0                                  // 00000000415C: D1010005 0001E505
	v_add_f32_e64 v6, v6, 1.0                                  // 000000004164: D1010006 0001E506
	v_add_f32_e64 v7, v7, 1.0                                  // 00000000416C: D1010007 0001E507
	v_rcp_f32_e32 v4, v4                                       // 000000004174: 7E084504
	v_rcp_f32_e32 v5, v5                                       // 000000004178: 7E0A4505
	v_rcp_f32_e32 v6, v6                                       // 00000000417C: 7E0C4506
	v_rcp_f32_e32 v7, v7                                       // 000000004180: 7E0E4507
	v_mul_f32_e32 v68, v68, v4                                 // 000000004184: 0A880944
	v_mul_f32_e32 v69, v69, v5                                 // 000000004188: 0A8A0B45
	v_mul_f32_e32 v70, v70, v6                                 // 00000000418C: 0A8C0D46
	v_mul_f32_e32 v71, v71, v7                                 // 000000004190: 0A8E0F47
	v_mul_f32_e32 v68, v68, v92                                // 000000004194: 0A88B944
	v_mul_f32_e32 v69, v69, v93                                // 000000004198: 0A8ABB45
	v_mul_f32_e32 v70, v70, v94                                // 00000000419C: 0A8CBD46
	v_mul_f32_e32 v71, v71, v95                                // 0000000041A0: 0A8EBF47

00000000000041a4 <label_05E9>:
	v_cmp_u_f32_e64 s[46:47], v48, v48                         // 0000000041A4: D048002E 00026130
	v_add3_u32 v16, v48, v19, 1                                // 0000000041AC: D1FF0010 02062730
	v_cndmask_b32_e64 v4, v16, v18, s[46:47]                   // 0000000041B4: D1000004 00BA2510
	v_cmp_u_f32_e64 s[46:47], v49, v49                         // 0000000041BC: D048002E 00026331
	v_add3_u32 v16, v49, v19, 1                                // 0000000041C4: D1FF0010 02062731
	v_cndmask_b32_e64 v5, v16, v18, s[46:47]                   // 0000000041CC: D1000005 00BA2510
	v_perm_b32 v48, v5, v4, s52                                // 0000000041D4: D1ED0030 00D20905
	v_cmp_u_f32_e64 s[46:47], v50, v50                         // 0000000041DC: D048002E 00026532
	v_add3_u32 v16, v50, v19, 1                                // 0000000041E4: D1FF0010 02062732
	v_cndmask_b32_e64 v4, v16, v18, s[46:47]                   // 0000000041EC: D1000004 00BA2510
	v_cmp_u_f32_e64 s[46:47], v51, v51                         // 0000000041F4: D048002E 00026733
	v_add3_u32 v16, v51, v19, 1                                // 0000000041FC: D1FF0010 02062733
	v_cndmask_b32_e64 v5, v16, v18, s[46:47]                   // 000000004204: D1000005 00BA2510
	v_perm_b32 v49, v5, v4, s52                                // 00000000420C: D1ED0031 00D20905
	v_cmp_u_f32_e64 s[46:47], v52, v52                         // 000000004214: D048002E 00026934
	v_add3_u32 v16, v52, v19, 1                                // 00000000421C: D1FF0010 02062734
	v_cndmask_b32_e64 v4, v16, v18, s[46:47]                   // 000000004224: D1000004 00BA2510
	v_cmp_u_f32_e64 s[46:47], v53, v53                         // 00000000422C: D048002E 00026B35
	v_add3_u32 v16, v53, v19, 1                                // 000000004234: D1FF0010 02062735
	v_cndmask_b32_e64 v5, v16, v18, s[46:47]                   // 00000000423C: D1000005 00BA2510
	v_perm_b32 v50, v5, v4, s52                                // 000000004244: D1ED0032 00D20905
	v_cmp_u_f32_e64 s[46:47], v54, v54                         // 00000000424C: D048002E 00026D36
	v_add3_u32 v16, v54, v19, 1                                // 000000004254: D1FF0010 02062736
	v_cndmask_b32_e64 v4, v16, v18, s[46:47]                   // 00000000425C: D1000004 00BA2510
	v_cmp_u_f32_e64 s[46:47], v55, v55                         // 000000004264: D048002E 00026F37
	v_add3_u32 v16, v55, v19, 1                                // 00000000426C: D1FF0010 02062737
	v_cndmask_b32_e64 v5, v16, v18, s[46:47]                   // 000000004274: D1000005 00BA2510
	v_perm_b32 v51, v5, v4, s52                                // 00000000427C: D1ED0033 00D20905
	v_cmp_u_f32_e64 s[46:47], v56, v56                         // 000000004284: D048002E 00027138
	v_add3_u32 v16, v56, v19, 1                                // 00000000428C: D1FF0010 02062738
	v_cndmask_b32_e64 v4, v16, v18, s[46:47]                   // 000000004294: D1000004 00BA2510
	v_cmp_u_f32_e64 s[46:47], v57, v57                         // 00000000429C: D048002E 00027339
	v_add3_u32 v16, v57, v19, 1                                // 0000000042A4: D1FF0010 02062739
	v_cndmask_b32_e64 v5, v16, v18, s[46:47]                   // 0000000042AC: D1000005 00BA2510
	v_perm_b32 v52, v5, v4, s52                                // 0000000042B4: D1ED0034 00D20905
	v_cmp_u_f32_e64 s[46:47], v58, v58                         // 0000000042BC: D048002E 0002753A
	v_add3_u32 v16, v58, v19, 1                                // 0000000042C4: D1FF0010 0206273A
	v_cndmask_b32_e64 v4, v16, v18, s[46:47]                   // 0000000042CC: D1000004 00BA2510
	v_cmp_u_f32_e64 s[46:47], v59, v59                         // 0000000042D4: D048002E 0002773B
	v_add3_u32 v16, v59, v19, 1                                // 0000000042DC: D1FF0010 0206273B
	v_cndmask_b32_e64 v5, v16, v18, s[46:47]                   // 0000000042E4: D1000005 00BA2510
	v_perm_b32 v53, v5, v4, s52                                // 0000000042EC: D1ED0035 00D20905
	v_cmp_u_f32_e64 s[46:47], v60, v60                         // 0000000042F4: D048002E 0002793C
	v_add3_u32 v16, v60, v19, 1                                // 0000000042FC: D1FF0010 0206273C
	v_cndmask_b32_e64 v4, v16, v18, s[46:47]                   // 000000004304: D1000004 00BA2510
	v_cmp_u_f32_e64 s[46:47], v61, v61                         // 00000000430C: D048002E 00027B3D
	v_add3_u32 v16, v61, v19, 1                                // 000000004314: D1FF0010 0206273D
	v_cndmask_b32_e64 v5, v16, v18, s[46:47]                   // 00000000431C: D1000005 00BA2510
	v_perm_b32 v54, v5, v4, s52                                // 000000004324: D1ED0036 00D20905
	v_cmp_u_f32_e64 s[46:47], v62, v62                         // 00000000432C: D048002E 00027D3E
	v_add3_u32 v16, v62, v19, 1                                // 000000004334: D1FF0010 0206273E
	v_cndmask_b32_e64 v4, v16, v18, s[46:47]                   // 00000000433C: D1000004 00BA2510
	v_cmp_u_f32_e64 s[46:47], v63, v63                         // 000000004344: D048002E 00027F3F
	v_add3_u32 v16, v63, v19, 1                                // 00000000434C: D1FF0010 0206273F
	v_cndmask_b32_e64 v5, v16, v18, s[46:47]                   // 000000004354: D1000005 00BA2510
	v_perm_b32 v55, v5, v4, s52                                // 00000000435C: D1ED0037 00D20905
	v_cmp_u_f32_e64 s[46:47], v64, v64                         // 000000004364: D048002E 00028140
	v_add3_u32 v16, v64, v19, 1                                // 00000000436C: D1FF0010 02062740
	v_cndmask_b32_e64 v4, v16, v18, s[46:47]                   // 000000004374: D1000004 00BA2510
	v_cmp_u_f32_e64 s[46:47], v65, v65                         // 00000000437C: D048002E 00028341
	v_add3_u32 v16, v65, v19, 1                                // 000000004384: D1FF0010 02062741
	v_cndmask_b32_e64 v5, v16, v18, s[46:47]                   // 00000000438C: D1000005 00BA2510
	v_perm_b32 v56, v5, v4, s52                                // 000000004394: D1ED0038 00D20905
	v_cmp_u_f32_e64 s[46:47], v66, v66                         // 00000000439C: D048002E 00028542
	v_add3_u32 v16, v66, v19, 1                                // 0000000043A4: D1FF0010 02062742
	v_cndmask_b32_e64 v4, v16, v18, s[46:47]                   // 0000000043AC: D1000004 00BA2510
	v_cmp_u_f32_e64 s[46:47], v67, v67                         // 0000000043B4: D048002E 00028743
	v_add3_u32 v16, v67, v19, 1                                // 0000000043BC: D1FF0010 02062743
	v_cndmask_b32_e64 v5, v16, v18, s[46:47]                   // 0000000043C4: D1000005 00BA2510
	v_perm_b32 v57, v5, v4, s52                                // 0000000043CC: D1ED0039 00D20905
	v_cmp_u_f32_e64 s[46:47], v68, v68                         // 0000000043D4: D048002E 00028944
	v_add3_u32 v16, v68, v19, 1                                // 0000000043DC: D1FF0010 02062744
	v_cndmask_b32_e64 v4, v16, v18, s[46:47]                   // 0000000043E4: D1000004 00BA2510
	v_cmp_u_f32_e64 s[46:47], v69, v69                         // 0000000043EC: D048002E 00028B45
	v_add3_u32 v16, v69, v19, 1                                // 0000000043F4: D1FF0010 02062745
	v_cndmask_b32_e64 v5, v16, v18, s[46:47]                   // 0000000043FC: D1000005 00BA2510
	v_perm_b32 v58, v5, v4, s52                                // 000000004404: D1ED003A 00D20905
	v_cmp_u_f32_e64 s[46:47], v70, v70                         // 00000000440C: D048002E 00028D46
	v_add3_u32 v16, v70, v19, 1                                // 000000004414: D1FF0010 02062746
	v_cndmask_b32_e64 v4, v16, v18, s[46:47]                   // 00000000441C: D1000004 00BA2510
	v_cmp_u_f32_e64 s[46:47], v71, v71                         // 000000004424: D048002E 00028F47
	v_add3_u32 v16, v71, v19, 1                                // 00000000442C: D1FF0010 02062747
	v_cndmask_b32_e64 v5, v16, v18, s[46:47]                   // 000000004434: D1000005 00BA2510
	v_perm_b32 v59, v5, v4, s52                                // 00000000443C: D1ED003B 00D20905
	ds_write_b64 v20, v[48:49]                                 // 000000004444: D89A0000 00003014
	ds_write_b64 v20, v[50:51] offset:4352                     // 00000000444C: D89A1100 00003214
	ds_write_b64 v20, v[52:53] offset:8704                     // 000000004454: D89A2200 00003414
	ds_write_b64 v20, v[54:55] offset:2176                     // 00000000445C: D89A0880 00003614
	ds_write_b64 v20, v[56:57] offset:6528                     // 000000004464: D89A1980 00003814
	ds_write_b64 v20, v[58:59] offset:10880                    // 00000000446C: D89A2A80 00003A14
	v_lshrrev_b32_e32 v4, 5, v0                                // 000000004474: 20080085
	v_xor_b32_e32 v5, 1, v4                                    // 000000004478: 2A0A0881
	s_mul_i32 s60, s65, 2                                      // 00000000447C: 923C8241
	s_cmp_eq_u32 s88, 0                                        // 000000004480: BF068058
	s_cselect_b32 s61, 1, 4                                    // 000000004484: 853D8481
	s_mul_i32 s60, s61, s60                                    // 000000004488: 923C3C3D
	v_readlane_b32 s82, v3, 0                                  // 00000000448C: D2890052 00010103
	s_lshr_b32 s61, s82, 24                                    // 000000004494: 8F3D9852
	s_and_b32 s82, s82, 0xffffff                               // 000000004498: 8652FF52 00FFFFFF
	s_mul_i32 s82, s82, s71                                    // 0000000044A0: 92524752
	s_mul_i32 s61, s60, s61                                    // 0000000044A4: 923D3D3C
	s_add_u32 s82, s82, s61                                    // 0000000044A8: 80523D52
	v_mul_lo_u32 v6, v5, s82                                   // 0000000044AC: D2850006 0000A505
	v_readlane_b32 s82, v3, 1                                  // 0000000044B4: D2890052 00010303
	s_lshr_b32 s61, s82, 24                                    // 0000000044BC: 8F3D9852
	s_and_b32 s82, s82, 0xffffff                               // 0000000044C0: 8652FF52 00FFFFFF
	s_mul_i32 s82, s82, s71                                    // 0000000044C8: 92524752
	s_mul_i32 s61, s60, s61                                    // 0000000044CC: 923D3D3C
	s_add_u32 s82, s82, s61                                    // 0000000044D0: 80523D52
	v_mul_lo_u32 v7, v4, s82                                   // 0000000044D4: D2850007 0000A504
	v_add_u32_e32 v40, v6, v7                                  // 0000000044DC: 68500F06
	v_readlane_b32 s82, v3, 2                                  // 0000000044E0: D2890052 00010503
	s_lshr_b32 s61, s82, 24                                    // 0000000044E8: 8F3D9852
	s_and_b32 s82, s82, 0xffffff                               // 0000000044EC: 8652FF52 00FFFFFF
	s_mul_i32 s82, s82, s71                                    // 0000000044F4: 92524752
	s_mul_i32 s61, s60, s61                                    // 0000000044F8: 923D3D3C
	s_add_u32 s82, s82, s61                                    // 0000000044FC: 80523D52
	v_mul_lo_u32 v6, v5, s82                                   // 000000004500: D2850006 0000A505
	v_readlane_b32 s82, v3, 3                                  // 000000004508: D2890052 00010703
	s_lshr_b32 s61, s82, 24                                    // 000000004510: 8F3D9852
	s_and_b32 s82, s82, 0xffffff                               // 000000004514: 8652FF52 00FFFFFF
	s_mul_i32 s82, s82, s71                                    // 00000000451C: 92524752
	s_mul_i32 s61, s60, s61                                    // 000000004520: 923D3D3C
	s_add_u32 s82, s82, s61                                    // 000000004524: 80523D52
	v_mul_lo_u32 v7, v4, s82                                   // 000000004528: D2850007 0000A504
	v_add_u32_e32 v41, v6, v7                                  // 000000004530: 68520F06
	v_readlane_b32 s82, v3, 4                                  // 000000004534: D2890052 00010903
	s_lshr_b32 s61, s82, 24                                    // 00000000453C: 8F3D9852
	s_and_b32 s82, s82, 0xffffff                               // 000000004540: 8652FF52 00FFFFFF
	s_mul_i32 s82, s82, s71                                    // 000000004548: 92524752
	s_mul_i32 s61, s60, s61                                    // 00000000454C: 923D3D3C
	s_add_u32 s82, s82, s61                                    // 000000004550: 80523D52
	v_mul_lo_u32 v6, v5, s82                                   // 000000004554: D2850006 0000A505
	v_readlane_b32 s82, v3, 5                                  // 00000000455C: D2890052 00010B03
	s_lshr_b32 s61, s82, 24                                    // 000000004564: 8F3D9852
	s_and_b32 s82, s82, 0xffffff                               // 000000004568: 8652FF52 00FFFFFF
	s_mul_i32 s82, s82, s71                                    // 000000004570: 92524752
	s_mul_i32 s61, s60, s61                                    // 000000004574: 923D3D3C
	s_add_u32 s82, s82, s61                                    // 000000004578: 80523D52
	v_mul_lo_u32 v7, v4, s82                                   // 00000000457C: D2850007 0000A504
	v_add_u32_e32 v42, v6, v7                                  // 000000004584: 68540F06
	v_readlane_b32 s82, v3, 6                                  // 000000004588: D2890052 00010D03
	s_lshr_b32 s61, s82, 24                                    // 000000004590: 8F3D9852
	s_and_b32 s82, s82, 0xffffff                               // 000000004594: 8652FF52 00FFFFFF
	s_mul_i32 s82, s82, s71                                    // 00000000459C: 92524752
	s_mul_i32 s61, s60, s61                                    // 0000000045A0: 923D3D3C
	s_add_u32 s82, s82, s61                                    // 0000000045A4: 80523D52
	v_mul_lo_u32 v6, v5, s82                                   // 0000000045A8: D2850006 0000A505
	v_readlane_b32 s82, v3, 7                                  // 0000000045B0: D2890052 00010F03
	s_lshr_b32 s61, s82, 24                                    // 0000000045B8: 8F3D9852
	s_and_b32 s82, s82, 0xffffff                               // 0000000045BC: 8652FF52 00FFFFFF
	s_mul_i32 s82, s82, s71                                    // 0000000045C4: 92524752
	s_mul_i32 s61, s60, s61                                    // 0000000045C8: 923D3D3C
	s_add_u32 s82, s82, s61                                    // 0000000045CC: 80523D52
	v_mul_lo_u32 v7, v4, s82                                   // 0000000045D0: D2850007 0000A504
	v_add_u32_e32 v43, v6, v7                                  // 0000000045D8: 68560F06
	v_readlane_b32 s82, v3, 8                                  // 0000000045DC: D2890052 00011103
	s_lshr_b32 s61, s82, 24                                    // 0000000045E4: 8F3D9852
	s_and_b32 s82, s82, 0xffffff                               // 0000000045E8: 8652FF52 00FFFFFF
	s_mul_i32 s82, s82, s71                                    // 0000000045F0: 92524752
	s_mul_i32 s61, s60, s61                                    // 0000000045F4: 923D3D3C
	s_add_u32 s82, s82, s61                                    // 0000000045F8: 80523D52
	v_mul_lo_u32 v6, v5, s82                                   // 0000000045FC: D2850006 0000A505
	v_readlane_b32 s82, v3, 9                                  // 000000004604: D2890052 00011303
	s_lshr_b32 s61, s82, 24                                    // 00000000460C: 8F3D9852
	s_and_b32 s82, s82, 0xffffff                               // 000000004610: 8652FF52 00FFFFFF
	s_mul_i32 s82, s82, s71                                    // 000000004618: 92524752
	s_mul_i32 s61, s60, s61                                    // 00000000461C: 923D3D3C
	s_add_u32 s82, s82, s61                                    // 000000004620: 80523D52
	v_mul_lo_u32 v7, v4, s82                                   // 000000004624: D2850007 0000A504
	v_add_u32_e32 v44, v6, v7                                  // 00000000462C: 68580F06
	v_readlane_b32 s82, v3, 10                                 // 000000004630: D2890052 00011503
	s_lshr_b32 s61, s82, 24                                    // 000000004638: 8F3D9852
	s_and_b32 s82, s82, 0xffffff                               // 00000000463C: 8652FF52 00FFFFFF
	s_mul_i32 s82, s82, s71                                    // 000000004644: 92524752
	s_mul_i32 s61, s60, s61                                    // 000000004648: 923D3D3C
	s_add_u32 s82, s82, s61                                    // 00000000464C: 80523D52
	v_mul_lo_u32 v6, v5, s82                                   // 000000004650: D2850006 0000A505
	v_readlane_b32 s82, v3, 11                                 // 000000004658: D2890052 00011703
	s_lshr_b32 s61, s82, 24                                    // 000000004660: 8F3D9852
	s_and_b32 s82, s82, 0xffffff                               // 000000004664: 8652FF52 00FFFFFF
	s_mul_i32 s82, s82, s71                                    // 00000000466C: 92524752
	s_mul_i32 s61, s60, s61                                    // 000000004670: 923D3D3C
	s_add_u32 s82, s82, s61                                    // 000000004674: 80523D52
	v_mul_lo_u32 v7, v4, s82                                   // 000000004678: D2850007 0000A504
	v_add_u32_e32 v45, v6, v7                                  // 000000004680: 685A0F06
	v_and_b32_e32 v4, 31, v0                                   // 000000004684: 2608009F
	v_lshrrev_b32_e32 v4, 1, v4                                // 000000004688: 20080881
	s_cmp_eq_u32 s88, 0                                        // 00000000468C: BF068058
	s_cselect_b32 s61, 2, 4                                    // 000000004690: 853D8482
	v_mul_lo_u32 v4, v4, s61                                   // 000000004694: D2850004 00007B04
	v_and_b32_e64 v5, v0, 1                                    // 00000000469C: D1130005 00010300
	v_add_u32_e32 v4, v4, v5                                   // 0000000046A4: 68080B04
	v_lshlrev_b32_e32 v4, 2, v4                                // 0000000046A8: 24080882
	v_add_u32_e32 v40, v40, v4                                 // 0000000046AC: 68500928
	v_add_u32_e32 v41, v41, v4                                 // 0000000046B0: 68520929
	v_add_u32_e32 v42, v42, v4                                 // 0000000046B4: 6854092A
	v_add_u32_e32 v43, v43, v4                                 // 0000000046B8: 6856092B
	v_add_u32_e32 v44, v44, v4                                 // 0000000046BC: 6858092C
	v_add_u32_e32 v45, v45, v4                                 // 0000000046C0: 685A092D
	s_waitcnt lgkmcnt(0)                                       // 0000000046C4: BF8CC07F
	s_barrier                                                  // 0000000046C8: BF8A0000
	ds_read_b32 v48, v21                                       // 0000000046CC: D86C0000 30000015
	ds_read_b32 v49, v21 offset:64                             // 0000000046D4: D86C0040 31000015
	ds_read_b32 v50, v21 offset:2176                           // 0000000046DC: D86C0880 32000015
	ds_read_b32 v51, v21 offset:2240                           // 0000000046E4: D86C08C0 33000015
	ds_read_b32 v52, v21 offset:4352                           // 0000000046EC: D86C1100 34000015
	ds_read_b32 v53, v21 offset:4416                           // 0000000046F4: D86C1140 35000015
	ds_read_b32 v54, v21 offset:6528                           // 0000000046FC: D86C1980 36000015
	ds_read_b32 v55, v21 offset:6592                           // 000000004704: D86C19C0 37000015
	ds_read_b32 v56, v21 offset:8704                           // 00000000470C: D86C2200 38000015
	ds_read_b32 v57, v21 offset:8768                           // 000000004714: D86C2240 39000015
	ds_read_b32 v58, v21 offset:10880                          // 00000000471C: D86C2A80 3A000015
	ds_read_b32 v59, v21 offset:10944                          // 000000004724: D86C2AC0 3B000015
	s_waitcnt lgkmcnt(0)                                       // 00000000472C: BF8CC07F
	s_mov_b32 s36, -1                                          // 000000004730: BEA400C1
	s_mov_b32 s37, -1                                          // 000000004734: BEA500C1
	v_mov_b32_e32 v7, 0                                        // 000000004738: 7E0E0280
	s_or_b32 s9, s9, 0x40000                                   // 00000000473C: 8709FF09 00040000
	s_mov_b64 exec, s[36:37]                                   // 000000004744: BEFE0124
	v_mov_b32_e32 v6, v40                                      // 000000004748: 7E0C0328
	s_mov_b64 s[60:61], 0                                      // 00000000474C: BEBC0180
	v_readlane_b32 s82, v3, 0                                  // 000000004750: D2890052 00010103
	s_and_b32 s82, s82, 0xffffff                               // 000000004758: 8652FF52 00FFFFFF
	s_cmp_lt_u32 s82, s66                                      // 000000004760: BF0A4252
	s_cselect_b32 s20, s36, s60                                // 000000004764: 85143C24
	v_readlane_b32 s82, v3, 1                                  // 000000004768: D2890052 00010303
	s_and_b32 s82, s82, 0xffffff                               // 000000004770: 8652FF52 00FFFFFF
	s_cmp_lt_u32 s82, s66                                      // 000000004778: BF0A4252
	s_cselect_b32 s21, s36, s60                                // 00000000477C: 85153C24
	s_mov_b64 exec, s[20:21]                                   // 000000004780: BEFE0114
	buffer_store_dword v48, v6, s[8:11], 0 offen               // 000000004784: E0701000 80023006
	buffer_store_dword v50, v6, s[8:11], 0 offen offset:128    // 00000000478C: E0701080 80023206
	s_mov_b64 exec, s[36:37]                                   // 000000004794: BEFE0124
	v_mov_b32_e32 v6, v41                                      // 000000004798: 7E0C0329
	s_mov_b64 s[60:61], 0                                      // 00000000479C: BEBC0180
	v_readlane_b32 s82, v3, 2                                  // 0000000047A0: D2890052 00010503
	s_and_b32 s82, s82, 0xffffff                               // 0000000047A8: 8652FF52 00FFFFFF
	s_cmp_lt_u32 s82, s66                                      // 0000000047B0: BF0A4252
	s_cselect_b32 s20, s36, s60                                // 0000000047B4: 85143C24
	v_readlane_b32 s82, v3, 3                                  // 0000000047B8: D2890052 00010703
	s_and_b32 s82, s82, 0xffffff                               // 0000000047C0: 8652FF52 00FFFFFF
	s_cmp_lt_u32 s82, s66                                      // 0000000047C8: BF0A4252
	s_cselect_b32 s21, s36, s60                                // 0000000047CC: 85153C24
	s_mov_b64 exec, s[20:21]                                   // 0000000047D0: BEFE0114
	buffer_store_dword v49, v6, s[8:11], 0 offen               // 0000000047D4: E0701000 80023106
	buffer_store_dword v51, v6, s[8:11], 0 offen offset:128    // 0000000047DC: E0701080 80023306
	s_mov_b64 exec, s[36:37]                                   // 0000000047E4: BEFE0124
	v_mov_b32_e32 v6, v42                                      // 0000000047E8: 7E0C032A
	s_mov_b64 s[60:61], 0                                      // 0000000047EC: BEBC0180
	v_readlane_b32 s82, v3, 4                                  // 0000000047F0: D2890052 00010903
	s_and_b32 s82, s82, 0xffffff                               // 0000000047F8: 8652FF52 00FFFFFF
	s_cmp_lt_u32 s82, s66                                      // 000000004800: BF0A4252
	s_cselect_b32 s20, s36, s60                                // 000000004804: 85143C24
	v_readlane_b32 s82, v3, 5                                  // 000000004808: D2890052 00010B03
	s_and_b32 s82, s82, 0xffffff                               // 000000004810: 8652FF52 00FFFFFF
	s_cmp_lt_u32 s82, s66                                      // 000000004818: BF0A4252
	s_cselect_b32 s21, s36, s60                                // 00000000481C: 85153C24
	s_mov_b64 exec, s[20:21]                                   // 000000004820: BEFE0114
	buffer_store_dword v52, v6, s[8:11], 0 offen               // 000000004824: E0701000 80023406
	buffer_store_dword v54, v6, s[8:11], 0 offen offset:128    // 00000000482C: E0701080 80023606
	s_mov_b64 exec, s[36:37]                                   // 000000004834: BEFE0124
	v_mov_b32_e32 v6, v43                                      // 000000004838: 7E0C032B
	s_mov_b64 s[60:61], 0                                      // 00000000483C: BEBC0180
	v_readlane_b32 s82, v3, 6                                  // 000000004840: D2890052 00010D03
	s_and_b32 s82, s82, 0xffffff                               // 000000004848: 8652FF52 00FFFFFF
	s_cmp_lt_u32 s82, s66                                      // 000000004850: BF0A4252
	s_cselect_b32 s20, s36, s60                                // 000000004854: 85143C24
	v_readlane_b32 s82, v3, 7                                  // 000000004858: D2890052 00010F03
	s_and_b32 s82, s82, 0xffffff                               // 000000004860: 8652FF52 00FFFFFF
	s_cmp_lt_u32 s82, s66                                      // 000000004868: BF0A4252
	s_cselect_b32 s21, s36, s60                                // 00000000486C: 85153C24
	s_mov_b64 exec, s[20:21]                                   // 000000004870: BEFE0114
	buffer_store_dword v53, v6, s[8:11], 0 offen               // 000000004874: E0701000 80023506
	buffer_store_dword v55, v6, s[8:11], 0 offen offset:128    // 00000000487C: E0701080 80023706
	s_mov_b64 exec, s[36:37]                                   // 000000004884: BEFE0124
	v_mov_b32_e32 v6, v44                                      // 000000004888: 7E0C032C
	s_mov_b64 s[60:61], 0                                      // 00000000488C: BEBC0180
	v_readlane_b32 s82, v3, 8                                  // 000000004890: D2890052 00011103
	s_and_b32 s82, s82, 0xffffff                               // 000000004898: 8652FF52 00FFFFFF
	s_cmp_lt_u32 s82, s66                                      // 0000000048A0: BF0A4252
	s_cselect_b32 s20, s36, s60                                // 0000000048A4: 85143C24
	v_readlane_b32 s82, v3, 9                                  // 0000000048A8: D2890052 00011303
	s_and_b32 s82, s82, 0xffffff                               // 0000000048B0: 8652FF52 00FFFFFF
	s_cmp_lt_u32 s82, s66                                      // 0000000048B8: BF0A4252
	s_cselect_b32 s21, s36, s60                                // 0000000048BC: 85153C24
	s_mov_b64 exec, s[20:21]                                   // 0000000048C0: BEFE0114
	buffer_store_dword v56, v6, s[8:11], 0 offen               // 0000000048C4: E0701000 80023806
	buffer_store_dword v58, v6, s[8:11], 0 offen offset:128    // 0000000048CC: E0701080 80023A06
	s_mov_b64 exec, s[36:37]                                   // 0000000048D4: BEFE0124
	v_mov_b32_e32 v6, v45                                      // 0000000048D8: 7E0C032D
	s_mov_b64 s[60:61], 0                                      // 0000000048DC: BEBC0180
	v_readlane_b32 s82, v3, 10                                 // 0000000048E0: D2890052 00011503
	s_and_b32 s82, s82, 0xffffff                               // 0000000048E8: 8652FF52 00FFFFFF
	s_cmp_lt_u32 s82, s66                                      // 0000000048F0: BF0A4252
	s_cselect_b32 s20, s36, s60                                // 0000000048F4: 85143C24
	v_readlane_b32 s82, v3, 11                                 // 0000000048F8: D2890052 00011703
	s_and_b32 s82, s82, 0xffffff                               // 000000004900: 8652FF52 00FFFFFF
	s_cmp_lt_u32 s82, s66                                      // 000000004908: BF0A4252
	s_cselect_b32 s21, s36, s60                                // 00000000490C: 85153C24
	s_mov_b64 exec, s[20:21]                                   // 000000004910: BEFE0114
	buffer_store_dword v57, v6, s[8:11], 0 offen               // 000000004914: E0701000 80023906
	buffer_store_dword v59, v6, s[8:11], 0 offen offset:128    // 00000000491C: E0701080 80023B06
	s_mov_b64 exec, s[36:37]                                   // 000000004924: BEFE0124
	s_branch label_13C4                                        // 000000004928: BF820BF6

000000000000492c <label_07CB>:
	ds_write_b64 v20, v[48:49]                                 // 00000000492C: D89A0000 00003014
	ds_write_b64 v20, v[52:53] offset:4352                     // 000000004934: D89A1100 00003414
	ds_write_b64 v20, v[56:57] offset:8704                     // 00000000493C: D89A2200 00003814
	ds_write_b64 v20, v[60:61] offset:2176                     // 000000004944: D89A0880 00003C14
	ds_write_b64 v20, v[64:65] offset:6528                     // 00000000494C: D89A1980 00004014
	ds_write_b64 v20, v[68:69] offset:10880                    // 000000004954: D89A2A80 00004414
	v_lshrrev_b32_e32 v4, 5, v0                                // 00000000495C: 20080085
	v_xor_b32_e32 v5, 1, v4                                    // 000000004960: 2A0A0881
	s_mul_i32 s60, s65, 2                                      // 000000004964: 923C8241
	s_cmp_eq_u32 s88, 0                                        // 000000004968: BF068058
	s_cselect_b32 s61, 1, 4                                    // 00000000496C: 853D8481
	s_mul_i32 s60, s61, s60                                    // 000000004970: 923C3C3D
	v_readlane_b32 s82, v3, 0                                  // 000000004974: D2890052 00010103
	s_lshr_b32 s61, s82, 24                                    // 00000000497C: 8F3D9852
	s_and_b32 s82, s82, 0xffffff                               // 000000004980: 8652FF52 00FFFFFF
	s_mul_i32 s82, s82, s71                                    // 000000004988: 92524752
	s_mul_i32 s61, s60, s61                                    // 00000000498C: 923D3D3C
	s_add_u32 s82, s82, s61                                    // 000000004990: 80523D52
	v_mul_lo_u32 v6, v5, s82                                   // 000000004994: D2850006 0000A505
	v_readlane_b32 s82, v3, 1                                  // 00000000499C: D2890052 00010303
	s_lshr_b32 s61, s82, 24                                    // 0000000049A4: 8F3D9852
	s_and_b32 s82, s82, 0xffffff                               // 0000000049A8: 8652FF52 00FFFFFF
	s_mul_i32 s82, s82, s71                                    // 0000000049B0: 92524752
	s_mul_i32 s61, s60, s61                                    // 0000000049B4: 923D3D3C
	s_add_u32 s82, s82, s61                                    // 0000000049B8: 80523D52
	v_mul_lo_u32 v7, v4, s82                                   // 0000000049BC: D2850007 0000A504
	v_add_u32_e32 v40, v6, v7                                  // 0000000049C4: 68500F06
	v_readlane_b32 s82, v3, 2                                  // 0000000049C8: D2890052 00010503
	s_lshr_b32 s61, s82, 24                                    // 0000000049D0: 8F3D9852
	s_and_b32 s82, s82, 0xffffff                               // 0000000049D4: 8652FF52 00FFFFFF
	s_mul_i32 s82, s82, s71                                    // 0000000049DC: 92524752
	s_mul_i32 s61, s60, s61                                    // 0000000049E0: 923D3D3C
	s_add_u32 s82, s82, s61                                    // 0000000049E4: 80523D52
	v_mul_lo_u32 v6, v5, s82                                   // 0000000049E8: D2850006 0000A505
	v_readlane_b32 s82, v3, 3                                  // 0000000049F0: D2890052 00010703
	s_lshr_b32 s61, s82, 24                                    // 0000000049F8: 8F3D9852
	s_and_b32 s82, s82, 0xffffff                               // 0000000049FC: 8652FF52 00FFFFFF
	s_mul_i32 s82, s82, s71                                    // 000000004A04: 92524752
	s_mul_i32 s61, s60, s61                                    // 000000004A08: 923D3D3C
	s_add_u32 s82, s82, s61                                    // 000000004A0C: 80523D52
	v_mul_lo_u32 v7, v4, s82                                   // 000000004A10: D2850007 0000A504
	v_add_u32_e32 v41, v6, v7                                  // 000000004A18: 68520F06
	v_readlane_b32 s82, v3, 4                                  // 000000004A1C: D2890052 00010903
	s_lshr_b32 s61, s82, 24                                    // 000000004A24: 8F3D9852
	s_and_b32 s82, s82, 0xffffff                               // 000000004A28: 8652FF52 00FFFFFF
	s_mul_i32 s82, s82, s71                                    // 000000004A30: 92524752
	s_mul_i32 s61, s60, s61                                    // 000000004A34: 923D3D3C
	s_add_u32 s82, s82, s61                                    // 000000004A38: 80523D52
	v_mul_lo_u32 v6, v5, s82                                   // 000000004A3C: D2850006 0000A505
	v_readlane_b32 s82, v3, 5                                  // 000000004A44: D2890052 00010B03
	s_lshr_b32 s61, s82, 24                                    // 000000004A4C: 8F3D9852
	s_and_b32 s82, s82, 0xffffff                               // 000000004A50: 8652FF52 00FFFFFF
	s_mul_i32 s82, s82, s71                                    // 000000004A58: 92524752
	s_mul_i32 s61, s60, s61                                    // 000000004A5C: 923D3D3C
	s_add_u32 s82, s82, s61                                    // 000000004A60: 80523D52
	v_mul_lo_u32 v7, v4, s82                                   // 000000004A64: D2850007 0000A504
	v_add_u32_e32 v42, v6, v7                                  // 000000004A6C: 68540F06
	v_readlane_b32 s82, v3, 6                                  // 000000004A70: D2890052 00010D03
	s_lshr_b32 s61, s82, 24                                    // 000000004A78: 8F3D9852
	s_and_b32 s82, s82, 0xffffff                               // 000000004A7C: 8652FF52 00FFFFFF
	s_mul_i32 s82, s82, s71                                    // 000000004A84: 92524752
	s_mul_i32 s61, s60, s61                                    // 000000004A88: 923D3D3C
	s_add_u32 s82, s82, s61                                    // 000000004A8C: 80523D52
	v_mul_lo_u32 v6, v5, s82                                   // 000000004A90: D2850006 0000A505
	v_readlane_b32 s82, v3, 7                                  // 000000004A98: D2890052 00010F03
	s_lshr_b32 s61, s82, 24                                    // 000000004AA0: 8F3D9852
	s_and_b32 s82, s82, 0xffffff                               // 000000004AA4: 8652FF52 00FFFFFF
	s_mul_i32 s82, s82, s71                                    // 000000004AAC: 92524752
	s_mul_i32 s61, s60, s61                                    // 000000004AB0: 923D3D3C
	s_add_u32 s82, s82, s61                                    // 000000004AB4: 80523D52
	v_mul_lo_u32 v7, v4, s82                                   // 000000004AB8: D2850007 0000A504
	v_add_u32_e32 v43, v6, v7                                  // 000000004AC0: 68560F06
	v_readlane_b32 s82, v3, 8                                  // 000000004AC4: D2890052 00011103
	s_lshr_b32 s61, s82, 24                                    // 000000004ACC: 8F3D9852
	s_and_b32 s82, s82, 0xffffff                               // 000000004AD0: 8652FF52 00FFFFFF
	s_mul_i32 s82, s82, s71                                    // 000000004AD8: 92524752
	s_mul_i32 s61, s60, s61                                    // 000000004ADC: 923D3D3C
	s_add_u32 s82, s82, s61                                    // 000000004AE0: 80523D52
	v_mul_lo_u32 v6, v5, s82                                   // 000000004AE4: D2850006 0000A505
	v_readlane_b32 s82, v3, 9                                  // 000000004AEC: D2890052 00011303
	s_lshr_b32 s61, s82, 24                                    // 000000004AF4: 8F3D9852
	s_and_b32 s82, s82, 0xffffff                               // 000000004AF8: 8652FF52 00FFFFFF
	s_mul_i32 s82, s82, s71                                    // 000000004B00: 92524752
	s_mul_i32 s61, s60, s61                                    // 000000004B04: 923D3D3C
	s_add_u32 s82, s82, s61                                    // 000000004B08: 80523D52
	v_mul_lo_u32 v7, v4, s82                                   // 000000004B0C: D2850007 0000A504
	v_add_u32_e32 v44, v6, v7                                  // 000000004B14: 68580F06
	v_readlane_b32 s82, v3, 10                                 // 000000004B18: D2890052 00011503
	s_lshr_b32 s61, s82, 24                                    // 000000004B20: 8F3D9852
	s_and_b32 s82, s82, 0xffffff                               // 000000004B24: 8652FF52 00FFFFFF
	s_mul_i32 s82, s82, s71                                    // 000000004B2C: 92524752
	s_mul_i32 s61, s60, s61                                    // 000000004B30: 923D3D3C
	s_add_u32 s82, s82, s61                                    // 000000004B34: 80523D52
	v_mul_lo_u32 v6, v5, s82                                   // 000000004B38: D2850006 0000A505
	v_readlane_b32 s82, v3, 11                                 // 000000004B40: D2890052 00011703
	s_lshr_b32 s61, s82, 24                                    // 000000004B48: 8F3D9852
	s_and_b32 s82, s82, 0xffffff                               // 000000004B4C: 8652FF52 00FFFFFF
	s_mul_i32 s82, s82, s71                                    // 000000004B54: 92524752
	s_mul_i32 s61, s60, s61                                    // 000000004B58: 923D3D3C
	s_add_u32 s82, s82, s61                                    // 000000004B5C: 80523D52
	v_mul_lo_u32 v7, v4, s82                                   // 000000004B60: D2850007 0000A504
	v_add_u32_e32 v45, v6, v7                                  // 000000004B68: 685A0F06
	v_and_b32_e32 v4, 31, v0                                   // 000000004B6C: 2608009F
	v_lshrrev_b32_e32 v4, 1, v4                                // 000000004B70: 20080881
	s_cmp_eq_u32 s88, 0                                        // 000000004B74: BF068058
	s_cselect_b32 s61, 2, 4                                    // 000000004B78: 853D8482
	v_mul_lo_u32 v4, v4, s61                                   // 000000004B7C: D2850004 00007B04
	v_and_b32_e64 v5, v0, 1                                    // 000000004B84: D1130005 00010300
	v_add_u32_e32 v4, v4, v5                                   // 000000004B8C: 68080B04
	v_lshlrev_b32_e32 v4, 2, v4                                // 000000004B90: 24080882
	v_add_u32_e32 v40, v40, v4                                 // 000000004B94: 68500928
	v_add_u32_e32 v41, v41, v4                                 // 000000004B98: 68520929
	v_add_u32_e32 v42, v42, v4                                 // 000000004B9C: 6854092A
	v_add_u32_e32 v43, v43, v4                                 // 000000004BA0: 6856092B
	v_add_u32_e32 v44, v44, v4                                 // 000000004BA4: 6858092C
	v_add_u32_e32 v45, v45, v4                                 // 000000004BA8: 685A092D
	s_waitcnt lgkmcnt(0)                                       // 000000004BAC: BF8CC07F
	s_barrier                                                  // 000000004BB0: BF8A0000
	ds_read_b32 v48, v21                                       // 000000004BB4: D86C0000 30000015
	ds_read_b32 v49, v21 offset:64                             // 000000004BBC: D86C0040 31000015
	ds_read_b32 v52, v21 offset:2176                           // 000000004BC4: D86C0880 34000015
	ds_read_b32 v53, v21 offset:2240                           // 000000004BCC: D86C08C0 35000015
	ds_read_b32 v56, v21 offset:4352                           // 000000004BD4: D86C1100 38000015
	ds_read_b32 v57, v21 offset:4416                           // 000000004BDC: D86C1140 39000015
	ds_read_b32 v60, v21 offset:6528                           // 000000004BE4: D86C1980 3C000015
	ds_read_b32 v61, v21 offset:6592                           // 000000004BEC: D86C19C0 3D000015
	ds_read_b32 v64, v21 offset:8704                           // 000000004BF4: D86C2200 40000015
	ds_read_b32 v65, v21 offset:8768                           // 000000004BFC: D86C2240 41000015
	ds_read_b32 v68, v21 offset:10880                          // 000000004C04: D86C2A80 44000015
	ds_read_b32 v69, v21 offset:10944                          // 000000004C0C: D86C2AC0 45000015
	s_waitcnt lgkmcnt(0)                                       // 000000004C14: BF8CC07F
	s_mov_b32 s36, -1                                          // 000000004C18: BEA400C1
	s_mov_b32 s37, -1                                          // 000000004C1C: BEA500C1
	v_mov_b32_e32 v7, 0                                        // 000000004C20: 7E0E0280
	s_mov_b64 exec, s[36:37]                                   // 000000004C24: BEFE0124
	v_mov_b32_e32 v6, v40                                      // 000000004C28: 7E0C0328
	s_mov_b64 s[60:61], 0                                      // 000000004C2C: BEBC0180
	v_readlane_b32 s82, v3, 0                                  // 000000004C30: D2890052 00010103
	s_and_b32 s82, s82, 0xffffff                               // 000000004C38: 8652FF52 00FFFFFF
	s_cmp_lt_u32 s82, s66                                      // 000000004C40: BF0A4252
	s_cselect_b32 s20, s36, s60                                // 000000004C44: 85143C24
	v_readlane_b32 s82, v3, 1                                  // 000000004C48: D2890052 00010303
	s_and_b32 s82, s82, 0xffffff                               // 000000004C50: 8652FF52 00FFFFFF
	s_cmp_lt_u32 s82, s66                                      // 000000004C58: BF0A4252
	s_cselect_b32 s21, s36, s60                                // 000000004C5C: 85153C24
	s_mov_b64 exec, s[20:21]                                   // 000000004C60: BEFE0114
	global_atomic_add_f32 v6, v48, s[8:9]                      // 000000004C64: DD348000 00083006
	global_atomic_add_f32 v6, v52, s[8:9] offset:256           // 000000004C6C: DD348100 00083406
	s_mov_b64 exec, s[36:37]                                   // 000000004C74: BEFE0124
	v_mov_b32_e32 v6, v41                                      // 000000004C78: 7E0C0329
	s_mov_b64 s[60:61], 0                                      // 000000004C7C: BEBC0180
	v_readlane_b32 s82, v3, 2                                  // 000000004C80: D2890052 00010503
	s_and_b32 s82, s82, 0xffffff                               // 000000004C88: 8652FF52 00FFFFFF
	s_cmp_lt_u32 s82, s66                                      // 000000004C90: BF0A4252
	s_cselect_b32 s20, s36, s60                                // 000000004C94: 85143C24
	v_readlane_b32 s82, v3, 3                                  // 000000004C98: D2890052 00010703
	s_and_b32 s82, s82, 0xffffff                               // 000000004CA0: 8652FF52 00FFFFFF
	s_cmp_lt_u32 s82, s66                                      // 000000004CA8: BF0A4252
	s_cselect_b32 s21, s36, s60                                // 000000004CAC: 85153C24
	s_mov_b64 exec, s[20:21]                                   // 000000004CB0: BEFE0114
	global_atomic_add_f32 v6, v49, s[8:9]                      // 000000004CB4: DD348000 00083106
	global_atomic_add_f32 v6, v53, s[8:9] offset:256           // 000000004CBC: DD348100 00083506
	s_mov_b64 exec, s[36:37]                                   // 000000004CC4: BEFE0124
	v_mov_b32_e32 v6, v42                                      // 000000004CC8: 7E0C032A
	s_mov_b64 s[60:61], 0                                      // 000000004CCC: BEBC0180
	v_readlane_b32 s82, v3, 4                                  // 000000004CD0: D2890052 00010903
	s_and_b32 s82, s82, 0xffffff                               // 000000004CD8: 8652FF52 00FFFFFF
	s_cmp_lt_u32 s82, s66                                      // 000000004CE0: BF0A4252
	s_cselect_b32 s20, s36, s60                                // 000000004CE4: 85143C24
	v_readlane_b32 s82, v3, 5                                  // 000000004CE8: D2890052 00010B03
	s_and_b32 s82, s82, 0xffffff                               // 000000004CF0: 8652FF52 00FFFFFF
	s_cmp_lt_u32 s82, s66                                      // 000000004CF8: BF0A4252
	s_cselect_b32 s21, s36, s60                                // 000000004CFC: 85153C24
	s_mov_b64 exec, s[20:21]                                   // 000000004D00: BEFE0114
	global_atomic_add_f32 v6, v56, s[8:9]                      // 000000004D04: DD348000 00083806
	global_atomic_add_f32 v6, v60, s[8:9] offset:256           // 000000004D0C: DD348100 00083C06
	s_mov_b64 exec, s[36:37]                                   // 000000004D14: BEFE0124
	v_mov_b32_e32 v6, v43                                      // 000000004D18: 7E0C032B
	s_mov_b64 s[60:61], 0                                      // 000000004D1C: BEBC0180
	v_readlane_b32 s82, v3, 6                                  // 000000004D20: D2890052 00010D03
	s_and_b32 s82, s82, 0xffffff                               // 000000004D28: 8652FF52 00FFFFFF
	s_cmp_lt_u32 s82, s66                                      // 000000004D30: BF0A4252
	s_cselect_b32 s20, s36, s60                                // 000000004D34: 85143C24
	v_readlane_b32 s82, v3, 7                                  // 000000004D38: D2890052 00010F03
	s_and_b32 s82, s82, 0xffffff                               // 000000004D40: 8652FF52 00FFFFFF
	s_cmp_lt_u32 s82, s66                                      // 000000004D48: BF0A4252
	s_cselect_b32 s21, s36, s60                                // 000000004D4C: 85153C24
	s_mov_b64 exec, s[20:21]                                   // 000000004D50: BEFE0114
	global_atomic_add_f32 v6, v57, s[8:9]                      // 000000004D54: DD348000 00083906
	global_atomic_add_f32 v6, v61, s[8:9] offset:256           // 000000004D5C: DD348100 00083D06
	s_mov_b64 exec, s[36:37]                                   // 000000004D64: BEFE0124
	v_mov_b32_e32 v6, v44                                      // 000000004D68: 7E0C032C
	s_mov_b64 s[60:61], 0                                      // 000000004D6C: BEBC0180
	v_readlane_b32 s82, v3, 8                                  // 000000004D70: D2890052 00011103
	s_and_b32 s82, s82, 0xffffff                               // 000000004D78: 8652FF52 00FFFFFF
	s_cmp_lt_u32 s82, s66                                      // 000000004D80: BF0A4252
	s_cselect_b32 s20, s36, s60                                // 000000004D84: 85143C24
	v_readlane_b32 s82, v3, 9                                  // 000000004D88: D2890052 00011303
	s_and_b32 s82, s82, 0xffffff                               // 000000004D90: 8652FF52 00FFFFFF
	s_cmp_lt_u32 s82, s66                                      // 000000004D98: BF0A4252
	s_cselect_b32 s21, s36, s60                                // 000000004D9C: 85153C24
	s_mov_b64 exec, s[20:21]                                   // 000000004DA0: BEFE0114
	global_atomic_add_f32 v6, v64, s[8:9]                      // 000000004DA4: DD348000 00084006
	global_atomic_add_f32 v6, v68, s[8:9] offset:256           // 000000004DAC: DD348100 00084406
	s_mov_b64 exec, s[36:37]                                   // 000000004DB4: BEFE0124
	v_mov_b32_e32 v6, v45                                      // 000000004DB8: 7E0C032D
	s_mov_b64 s[60:61], 0                                      // 000000004DBC: BEBC0180
	v_readlane_b32 s82, v3, 10                                 // 000000004DC0: D2890052 00011503
	s_and_b32 s82, s82, 0xffffff                               // 000000004DC8: 8652FF52 00FFFFFF
	s_cmp_lt_u32 s82, s66                                      // 000000004DD0: BF0A4252
	s_cselect_b32 s20, s36, s60                                // 000000004DD4: 85143C24
	v_readlane_b32 s82, v3, 11                                 // 000000004DD8: D2890052 00011703
	s_and_b32 s82, s82, 0xffffff                               // 000000004DE0: 8652FF52 00FFFFFF
	s_cmp_lt_u32 s82, s66                                      // 000000004DE8: BF0A4252
	s_cselect_b32 s21, s36, s60                                // 000000004DEC: 85153C24
	s_mov_b64 exec, s[20:21]                                   // 000000004DF0: BEFE0114
	global_atomic_add_f32 v6, v65, s[8:9]                      // 000000004DF4: DD348000 00084106
	global_atomic_add_f32 v6, v69, s[8:9] offset:256           // 000000004DFC: DD348100 00084506
	s_mov_b64 exec, s[36:37]                                   // 000000004E04: BEFE0124
	ds_write_b64 v20, v[50:51]                                 // 000000004E08: D89A0000 00003214
	ds_write_b64 v20, v[54:55] offset:4352                     // 000000004E10: D89A1100 00003614
	ds_write_b64 v20, v[58:59] offset:8704                     // 000000004E18: D89A2200 00003A14
	ds_write_b64 v20, v[62:63] offset:2176                     // 000000004E20: D89A0880 00003E14
	ds_write_b64 v20, v[66:67] offset:6528                     // 000000004E28: D89A1980 00004214
	ds_write_b64 v20, v[70:71] offset:10880                    // 000000004E30: D89A2A80 00004614
	s_waitcnt lgkmcnt(0)                                       // 000000004E38: BF8CC07F
	s_barrier                                                  // 000000004E3C: BF8A0000
	ds_read_b32 v50, v21                                       // 000000004E40: D86C0000 32000015
	ds_read_b32 v51, v21 offset:64                             // 000000004E48: D86C0040 33000015
	ds_read_b32 v54, v21 offset:2176                           // 000000004E50: D86C0880 36000015
	ds_read_b32 v55, v21 offset:2240                           // 000000004E58: D86C08C0 37000015
	ds_read_b32 v58, v21 offset:4352                           // 000000004E60: D86C1100 3A000015
	ds_read_b32 v59, v21 offset:4416                           // 000000004E68: D86C1140 3B000015
	ds_read_b32 v62, v21 offset:6528                           // 000000004E70: D86C1980 3E000015
	ds_read_b32 v63, v21 offset:6592                           // 000000004E78: D86C19C0 3F000015
	ds_read_b32 v66, v21 offset:8704                           // 000000004E80: D86C2200 42000015
	ds_read_b32 v67, v21 offset:8768                           // 000000004E88: D86C2240 43000015
	ds_read_b32 v70, v21 offset:10880                          // 000000004E90: D86C2A80 46000015
	ds_read_b32 v71, v21 offset:10944                          // 000000004E98: D86C2AC0 47000015
	s_waitcnt lgkmcnt(0)                                       // 000000004EA0: BF8CC07F
	v_mov_b32_e32 v7, 0                                        // 000000004EA4: 7E0E0280
	s_mov_b64 exec, s[36:37]                                   // 000000004EA8: BEFE0124
	v_mov_b32_e32 v6, v40                                      // 000000004EAC: 7E0C0328
	s_mov_b64 s[60:61], 0                                      // 000000004EB0: BEBC0180
	v_readlane_b32 s82, v3, 0                                  // 000000004EB4: D2890052 00010103
	s_and_b32 s82, s82, 0xffffff                               // 000000004EBC: 8652FF52 00FFFFFF
	s_cmp_lt_u32 s82, s66                                      // 000000004EC4: BF0A4252
	s_cselect_b32 s20, s36, s60                                // 000000004EC8: 85143C24
	v_readlane_b32 s82, v3, 1                                  // 000000004ECC: D2890052 00010303
	s_and_b32 s82, s82, 0xffffff                               // 000000004ED4: 8652FF52 00FFFFFF
	s_cmp_lt_u32 s82, s66                                      // 000000004EDC: BF0A4252
	s_cselect_b32 s21, s36, s60                                // 000000004EE0: 85153C24
	s_mov_b64 exec, s[20:21]                                   // 000000004EE4: BEFE0114
	global_atomic_add_f32 v6, v50, s[8:9] offset:8             // 000000004EE8: DD348008 00083206
	global_atomic_add_f32 v6, v54, s[8:9] offset:264           // 000000004EF0: DD348108 00083606
	s_mov_b64 exec, s[36:37]                                   // 000000004EF8: BEFE0124
	v_mov_b32_e32 v6, v41                                      // 000000004EFC: 7E0C0329
	s_mov_b64 s[60:61], 0                                      // 000000004F00: BEBC0180
	v_readlane_b32 s82, v3, 2                                  // 000000004F04: D2890052 00010503
	s_and_b32 s82, s82, 0xffffff                               // 000000004F0C: 8652FF52 00FFFFFF
	s_cmp_lt_u32 s82, s66                                      // 000000004F14: BF0A4252
	s_cselect_b32 s20, s36, s60                                // 000000004F18: 85143C24
	v_readlane_b32 s82, v3, 3                                  // 000000004F1C: D2890052 00010703
	s_and_b32 s82, s82, 0xffffff                               // 000000004F24: 8652FF52 00FFFFFF
	s_cmp_lt_u32 s82, s66                                      // 000000004F2C: BF0A4252
	s_cselect_b32 s21, s36, s60                                // 000000004F30: 85153C24
	s_mov_b64 exec, s[20:21]                                   // 000000004F34: BEFE0114
	global_atomic_add_f32 v6, v51, s[8:9] offset:8             // 000000004F38: DD348008 00083306
	global_atomic_add_f32 v6, v55, s[8:9] offset:264           // 000000004F40: DD348108 00083706
	s_mov_b64 exec, s[36:37]                                   // 000000004F48: BEFE0124
	v_mov_b32_e32 v6, v42                                      // 000000004F4C: 7E0C032A
	s_mov_b64 s[60:61], 0                                      // 000000004F50: BEBC0180
	v_readlane_b32 s82, v3, 4                                  // 000000004F54: D2890052 00010903
	s_and_b32 s82, s82, 0xffffff                               // 000000004F5C: 8652FF52 00FFFFFF
	s_cmp_lt_u32 s82, s66                                      // 000000004F64: BF0A4252
	s_cselect_b32 s20, s36, s60                                // 000000004F68: 85143C24
	v_readlane_b32 s82, v3, 5                                  // 000000004F6C: D2890052 00010B03
	s_and_b32 s82, s82, 0xffffff                               // 000000004F74: 8652FF52 00FFFFFF
	s_cmp_lt_u32 s82, s66                                      // 000000004F7C: BF0A4252
	s_cselect_b32 s21, s36, s60                                // 000000004F80: 85153C24
	s_mov_b64 exec, s[20:21]                                   // 000000004F84: BEFE0114
	global_atomic_add_f32 v6, v58, s[8:9] offset:8             // 000000004F88: DD348008 00083A06
	global_atomic_add_f32 v6, v62, s[8:9] offset:264           // 000000004F90: DD348108 00083E06
	s_mov_b64 exec, s[36:37]                                   // 000000004F98: BEFE0124
	v_mov_b32_e32 v6, v43                                      // 000000004F9C: 7E0C032B
	s_mov_b64 s[60:61], 0                                      // 000000004FA0: BEBC0180
	v_readlane_b32 s82, v3, 6                                  // 000000004FA4: D2890052 00010D03
	s_and_b32 s82, s82, 0xffffff                               // 000000004FAC: 8652FF52 00FFFFFF
	s_cmp_lt_u32 s82, s66                                      // 000000004FB4: BF0A4252
	s_cselect_b32 s20, s36, s60                                // 000000004FB8: 85143C24
	v_readlane_b32 s82, v3, 7                                  // 000000004FBC: D2890052 00010F03
	s_and_b32 s82, s82, 0xffffff                               // 000000004FC4: 8652FF52 00FFFFFF
	s_cmp_lt_u32 s82, s66                                      // 000000004FCC: BF0A4252
	s_cselect_b32 s21, s36, s60                                // 000000004FD0: 85153C24
	s_mov_b64 exec, s[20:21]                                   // 000000004FD4: BEFE0114
	global_atomic_add_f32 v6, v59, s[8:9] offset:8             // 000000004FD8: DD348008 00083B06
	global_atomic_add_f32 v6, v63, s[8:9] offset:264           // 000000004FE0: DD348108 00083F06
	s_mov_b64 exec, s[36:37]                                   // 000000004FE8: BEFE0124
	v_mov_b32_e32 v6, v44                                      // 000000004FEC: 7E0C032C
	s_mov_b64 s[60:61], 0                                      // 000000004FF0: BEBC0180
	v_readlane_b32 s82, v3, 8                                  // 000000004FF4: D2890052 00011103
	s_and_b32 s82, s82, 0xffffff                               // 000000004FFC: 8652FF52 00FFFFFF
	s_cmp_lt_u32 s82, s66                                      // 000000005004: BF0A4252
	s_cselect_b32 s20, s36, s60                                // 000000005008: 85143C24
	v_readlane_b32 s82, v3, 9                                  // 00000000500C: D2890052 00011303
	s_and_b32 s82, s82, 0xffffff                               // 000000005014: 8652FF52 00FFFFFF
	s_cmp_lt_u32 s82, s66                                      // 00000000501C: BF0A4252
	s_cselect_b32 s21, s36, s60                                // 000000005020: 85153C24
	s_mov_b64 exec, s[20:21]                                   // 000000005024: BEFE0114
	global_atomic_add_f32 v6, v66, s[8:9] offset:8             // 000000005028: DD348008 00084206
	global_atomic_add_f32 v6, v70, s[8:9] offset:264           // 000000005030: DD348108 00084606
	s_mov_b64 exec, s[36:37]                                   // 000000005038: BEFE0124
	v_mov_b32_e32 v6, v45                                      // 00000000503C: 7E0C032D
	s_mov_b64 s[60:61], 0                                      // 000000005040: BEBC0180
	v_readlane_b32 s82, v3, 10                                 // 000000005044: D2890052 00011503
	s_and_b32 s82, s82, 0xffffff                               // 00000000504C: 8652FF52 00FFFFFF
	s_cmp_lt_u32 s82, s66                                      // 000000005054: BF0A4252
	s_cselect_b32 s20, s36, s60                                // 000000005058: 85143C24
	v_readlane_b32 s82, v3, 11                                 // 00000000505C: D2890052 00011703
	s_and_b32 s82, s82, 0xffffff                               // 000000005064: 8652FF52 00FFFFFF
	s_cmp_lt_u32 s82, s66                                      // 00000000506C: BF0A4252
	s_cselect_b32 s21, s36, s60                                // 000000005070: 85153C24
	s_mov_b64 exec, s[20:21]                                   // 000000005074: BEFE0114
	global_atomic_add_f32 v6, v67, s[8:9] offset:8             // 000000005078: DD348008 00084306
	global_atomic_add_f32 v6, v71, s[8:9] offset:264           // 000000005080: DD348108 00084706
	s_mov_b64 exec, s[36:37]                                   // 000000005088: BEFE0124
	ds_write_b64 v20, v[72:73]                                 // 00000000508C: D89A0000 00004814
	ds_write_b64 v20, v[76:77] offset:4352                     // 000000005094: D89A1100 00004C14
	ds_write_b64 v20, v[80:81] offset:8704                     // 00000000509C: D89A2200 00005014
	ds_write_b64 v20, v[84:85] offset:2176                     // 0000000050A4: D89A0880 00005414
	ds_write_b64 v20, v[88:89] offset:6528                     // 0000000050AC: D89A1980 00005814
	ds_write_b64 v20, v[92:93] offset:10880                    // 0000000050B4: D89A2A80 00005C14
	s_waitcnt lgkmcnt(0)                                       // 0000000050BC: BF8CC07F
	s_barrier                                                  // 0000000050C0: BF8A0000
	ds_read_b32 v72, v21                                       // 0000000050C4: D86C0000 48000015
	ds_read_b32 v73, v21 offset:64                             // 0000000050CC: D86C0040 49000015
	ds_read_b32 v76, v21 offset:2176                           // 0000000050D4: D86C0880 4C000015
	ds_read_b32 v77, v21 offset:2240                           // 0000000050DC: D86C08C0 4D000015
	ds_read_b32 v80, v21 offset:4352                           // 0000000050E4: D86C1100 50000015
	ds_read_b32 v81, v21 offset:4416                           // 0000000050EC: D86C1140 51000015
	ds_read_b32 v84, v21 offset:6528                           // 0000000050F4: D86C1980 54000015
	ds_read_b32 v85, v21 offset:6592                           // 0000000050FC: D86C19C0 55000015
	ds_read_b32 v88, v21 offset:8704                           // 000000005104: D86C2200 58000015
	ds_read_b32 v89, v21 offset:8768                           // 00000000510C: D86C2240 59000015
	ds_read_b32 v92, v21 offset:10880                          // 000000005114: D86C2A80 5C000015
	ds_read_b32 v93, v21 offset:10944                          // 00000000511C: D86C2AC0 5D000015
	s_mul_i32 s60, s65, 4                                      // 000000005124: 923C8441
	s_add_u32 s8, s60, s8                                      // 000000005128: 8008083C
	s_addc_u32 s9, 0, s9                                       // 00000000512C: 82090980
	s_waitcnt lgkmcnt(0)                                       // 000000005130: BF8CC07F
	v_mov_b32_e32 v7, 0                                        // 000000005134: 7E0E0280
	s_mov_b64 exec, s[36:37]                                   // 000000005138: BEFE0124
	v_mov_b32_e32 v6, v40                                      // 00000000513C: 7E0C0328
	s_mov_b64 s[60:61], 0                                      // 000000005140: BEBC0180
	v_readlane_b32 s82, v3, 0                                  // 000000005144: D2890052 00010103
	s_and_b32 s82, s82, 0xffffff                               // 00000000514C: 8652FF52 00FFFFFF
	s_cmp_lt_u32 s82, s66                                      // 000000005154: BF0A4252
	s_cselect_b32 s20, s36, s60                                // 000000005158: 85143C24
	v_readlane_b32 s82, v3, 1                                  // 00000000515C: D2890052 00010303
	s_and_b32 s82, s82, 0xffffff                               // 000000005164: 8652FF52 00FFFFFF
	s_cmp_lt_u32 s82, s66                                      // 00000000516C: BF0A4252
	s_cselect_b32 s21, s36, s60                                // 000000005170: 85153C24
	s_mov_b64 exec, s[20:21]                                   // 000000005174: BEFE0114
	global_atomic_add_f32 v6, v72, s[8:9]                      // 000000005178: DD348000 00084806
	global_atomic_add_f32 v6, v76, s[8:9] offset:256           // 000000005180: DD348100 00084C06
	s_mov_b64 exec, s[36:37]                                   // 000000005188: BEFE0124
	v_mov_b32_e32 v6, v41                                      // 00000000518C: 7E0C0329
	s_mov_b64 s[60:61], 0                                      // 000000005190: BEBC0180
	v_readlane_b32 s82, v3, 2                                  // 000000005194: D2890052 00010503
	s_and_b32 s82, s82, 0xffffff                               // 00000000519C: 8652FF52 00FFFFFF
	s_cmp_lt_u32 s82, s66                                      // 0000000051A4: BF0A4252
	s_cselect_b32 s20, s36, s60                                // 0000000051A8: 85143C24
	v_readlane_b32 s82, v3, 3                                  // 0000000051AC: D2890052 00010703
	s_and_b32 s82, s82, 0xffffff                               // 0000000051B4: 8652FF52 00FFFFFF
	s_cmp_lt_u32 s82, s66                                      // 0000000051BC: BF0A4252
	s_cselect_b32 s21, s36, s60                                // 0000000051C0: 85153C24
	s_mov_b64 exec, s[20:21]                                   // 0000000051C4: BEFE0114
	global_atomic_add_f32 v6, v73, s[8:9]                      // 0000000051C8: DD348000 00084906
	global_atomic_add_f32 v6, v77, s[8:9] offset:256           // 0000000051D0: DD348100 00084D06
	s_mov_b64 exec, s[36:37]                                   // 0000000051D8: BEFE0124
	v_mov_b32_e32 v6, v42                                      // 0000000051DC: 7E0C032A
	s_mov_b64 s[60:61], 0                                      // 0000000051E0: BEBC0180
	v_readlane_b32 s82, v3, 4                                  // 0000000051E4: D2890052 00010903
	s_and_b32 s82, s82, 0xffffff                               // 0000000051EC: 8652FF52 00FFFFFF
	s_cmp_lt_u32 s82, s66                                      // 0000000051F4: BF0A4252
	s_cselect_b32 s20, s36, s60                                // 0000000051F8: 85143C24
	v_readlane_b32 s82, v3, 5                                  // 0000000051FC: D2890052 00010B03
	s_and_b32 s82, s82, 0xffffff                               // 000000005204: 8652FF52 00FFFFFF
	s_cmp_lt_u32 s82, s66                                      // 00000000520C: BF0A4252
	s_cselect_b32 s21, s36, s60                                // 000000005210: 85153C24
	s_mov_b64 exec, s[20:21]                                   // 000000005214: BEFE0114
	global_atomic_add_f32 v6, v80, s[8:9]                      // 000000005218: DD348000 00085006
	global_atomic_add_f32 v6, v84, s[8:9] offset:256           // 000000005220: DD348100 00085406
	s_mov_b64 exec, s[36:37]                                   // 000000005228: BEFE0124
	v_mov_b32_e32 v6, v43                                      // 00000000522C: 7E0C032B
	s_mov_b64 s[60:61], 0                                      // 000000005230: BEBC0180
	v_readlane_b32 s82, v3, 6                                  // 000000005234: D2890052 00010D03
	s_and_b32 s82, s82, 0xffffff                               // 00000000523C: 8652FF52 00FFFFFF
	s_cmp_lt_u32 s82, s66                                      // 000000005244: BF0A4252
	s_cselect_b32 s20, s36, s60                                // 000000005248: 85143C24
	v_readlane_b32 s82, v3, 7                                  // 00000000524C: D2890052 00010F03
	s_and_b32 s82, s82, 0xffffff                               // 000000005254: 8652FF52 00FFFFFF
	s_cmp_lt_u32 s82, s66                                      // 00000000525C: BF0A4252
	s_cselect_b32 s21, s36, s60                                // 000000005260: 85153C24
	s_mov_b64 exec, s[20:21]                                   // 000000005264: BEFE0114
	global_atomic_add_f32 v6, v81, s[8:9]                      // 000000005268: DD348000 00085106
	global_atomic_add_f32 v6, v85, s[8:9] offset:256           // 000000005270: DD348100 00085506
	s_mov_b64 exec, s[36:37]                                   // 000000005278: BEFE0124
	v_mov_b32_e32 v6, v44                                      // 00000000527C: 7E0C032C
	s_mov_b64 s[60:61], 0                                      // 000000005280: BEBC0180
	v_readlane_b32 s82, v3, 8                                  // 000000005284: D2890052 00011103
	s_and_b32 s82, s82, 0xffffff                               // 00000000528C: 8652FF52 00FFFFFF
	s_cmp_lt_u32 s82, s66                                      // 000000005294: BF0A4252
	s_cselect_b32 s20, s36, s60                                // 000000005298: 85143C24
	v_readlane_b32 s82, v3, 9                                  // 00000000529C: D2890052 00011303
	s_and_b32 s82, s82, 0xffffff                               // 0000000052A4: 8652FF52 00FFFFFF
	s_cmp_lt_u32 s82, s66                                      // 0000000052AC: BF0A4252
	s_cselect_b32 s21, s36, s60                                // 0000000052B0: 85153C24
	s_mov_b64 exec, s[20:21]                                   // 0000000052B4: BEFE0114
	global_atomic_add_f32 v6, v88, s[8:9]                      // 0000000052B8: DD348000 00085806
	global_atomic_add_f32 v6, v92, s[8:9] offset:256           // 0000000052C0: DD348100 00085C06
	s_mov_b64 exec, s[36:37]                                   // 0000000052C8: BEFE0124
	v_mov_b32_e32 v6, v45                                      // 0000000052CC: 7E0C032D
	s_mov_b64 s[60:61], 0                                      // 0000000052D0: BEBC0180
	v_readlane_b32 s82, v3, 10                                 // 0000000052D4: D2890052 00011503
	s_and_b32 s82, s82, 0xffffff                               // 0000000052DC: 8652FF52 00FFFFFF
	s_cmp_lt_u32 s82, s66                                      // 0000000052E4: BF0A4252
	s_cselect_b32 s20, s36, s60                                // 0000000052E8: 85143C24
	v_readlane_b32 s82, v3, 11                                 // 0000000052EC: D2890052 00011703
	s_and_b32 s82, s82, 0xffffff                               // 0000000052F4: 8652FF52 00FFFFFF
	s_cmp_lt_u32 s82, s66                                      // 0000000052FC: BF0A4252
	s_cselect_b32 s21, s36, s60                                // 000000005300: 85153C24
	s_mov_b64 exec, s[20:21]                                   // 000000005304: BEFE0114
	global_atomic_add_f32 v6, v89, s[8:9]                      // 000000005308: DD348000 00085906
	global_atomic_add_f32 v6, v93, s[8:9] offset:256           // 000000005310: DD348100 00085D06
	s_mov_b64 exec, s[36:37]                                   // 000000005318: BEFE0124
	ds_write_b64 v20, v[74:75]                                 // 00000000531C: D89A0000 00004A14
	ds_write_b64 v20, v[78:79] offset:4352                     // 000000005324: D89A1100 00004E14
	ds_write_b64 v20, v[82:83] offset:8704                     // 00000000532C: D89A2200 00005214
	ds_write_b64 v20, v[86:87] offset:2176                     // 000000005334: D89A0880 00005614
	ds_write_b64 v20, v[90:91] offset:6528                     // 00000000533C: D89A1980 00005A14
	ds_write_b64 v20, v[94:95] offset:10880                    // 000000005344: D89A2A80 00005E14
	s_waitcnt lgkmcnt(0)                                       // 00000000534C: BF8CC07F
	s_barrier                                                  // 000000005350: BF8A0000
	ds_read_b32 v74, v21                                       // 000000005354: D86C0000 4A000015
	ds_read_b32 v75, v21 offset:64                             // 00000000535C: D86C0040 4B000015
	ds_read_b32 v78, v21 offset:2176                           // 000000005364: D86C0880 4E000015
	ds_read_b32 v79, v21 offset:2240                           // 00000000536C: D86C08C0 4F000015
	ds_read_b32 v82, v21 offset:4352                           // 000000005374: D86C1100 52000015
	ds_read_b32 v83, v21 offset:4416                           // 00000000537C: D86C1140 53000015
	ds_read_b32 v86, v21 offset:6528                           // 000000005384: D86C1980 56000015
	ds_read_b32 v87, v21 offset:6592                           // 00000000538C: D86C19C0 57000015
	ds_read_b32 v90, v21 offset:8704                           // 000000005394: D86C2200 5A000015
	ds_read_b32 v91, v21 offset:8768                           // 00000000539C: D86C2240 5B000015
	ds_read_b32 v94, v21 offset:10880                          // 0000000053A4: D86C2A80 5E000015
	ds_read_b32 v95, v21 offset:10944                          // 0000000053AC: D86C2AC0 5F000015
	s_waitcnt lgkmcnt(0)                                       // 0000000053B4: BF8CC07F
	v_mov_b32_e32 v7, 0                                        // 0000000053B8: 7E0E0280
	s_mov_b64 exec, s[36:37]                                   // 0000000053BC: BEFE0124
	v_mov_b32_e32 v6, v40                                      // 0000000053C0: 7E0C0328
	s_mov_b64 s[60:61], 0                                      // 0000000053C4: BEBC0180
	v_readlane_b32 s82, v3, 0                                  // 0000000053C8: D2890052 00010103
	s_and_b32 s82, s82, 0xffffff                               // 0000000053D0: 8652FF52 00FFFFFF
	s_cmp_lt_u32 s82, s66                                      // 0000000053D8: BF0A4252
	s_cselect_b32 s20, s36, s60                                // 0000000053DC: 85143C24
	v_readlane_b32 s82, v3, 1                                  // 0000000053E0: D2890052 00010303
	s_and_b32 s82, s82, 0xffffff                               // 0000000053E8: 8652FF52 00FFFFFF
	s_cmp_lt_u32 s82, s66                                      // 0000000053F0: BF0A4252
	s_cselect_b32 s21, s36, s60                                // 0000000053F4: 85153C24
	s_mov_b64 exec, s[20:21]                                   // 0000000053F8: BEFE0114
	global_atomic_add_f32 v6, v74, s[8:9] offset:8             // 0000000053FC: DD348008 00084A06
	global_atomic_add_f32 v6, v78, s[8:9] offset:264           // 000000005404: DD348108 00084E06
	s_mov_b64 exec, s[36:37]                                   // 00000000540C: BEFE0124
	v_mov_b32_e32 v6, v41                                      // 000000005410: 7E0C0329
	s_mov_b64 s[60:61], 0                                      // 000000005414: BEBC0180
	v_readlane_b32 s82, v3, 2                                  // 000000005418: D2890052 00010503
	s_and_b32 s82, s82, 0xffffff                               // 000000005420: 8652FF52 00FFFFFF
	s_cmp_lt_u32 s82, s66                                      // 000000005428: BF0A4252
	s_cselect_b32 s20, s36, s60                                // 00000000542C: 85143C24
	v_readlane_b32 s82, v3, 3                                  // 000000005430: D2890052 00010703
	s_and_b32 s82, s82, 0xffffff                               // 000000005438: 8652FF52 00FFFFFF
	s_cmp_lt_u32 s82, s66                                      // 000000005440: BF0A4252
	s_cselect_b32 s21, s36, s60                                // 000000005444: 85153C24
	s_mov_b64 exec, s[20:21]                                   // 000000005448: BEFE0114
	global_atomic_add_f32 v6, v75, s[8:9] offset:8             // 00000000544C: DD348008 00084B06
	global_atomic_add_f32 v6, v79, s[8:9] offset:264           // 000000005454: DD348108 00084F06
	s_mov_b64 exec, s[36:37]                                   // 00000000545C: BEFE0124
	v_mov_b32_e32 v6, v42                                      // 000000005460: 7E0C032A
	s_mov_b64 s[60:61], 0                                      // 000000005464: BEBC0180
	v_readlane_b32 s82, v3, 4                                  // 000000005468: D2890052 00010903
	s_and_b32 s82, s82, 0xffffff                               // 000000005470: 8652FF52 00FFFFFF
	s_cmp_lt_u32 s82, s66                                      // 000000005478: BF0A4252
	s_cselect_b32 s20, s36, s60                                // 00000000547C: 85143C24
	v_readlane_b32 s82, v3, 5                                  // 000000005480: D2890052 00010B03
	s_and_b32 s82, s82, 0xffffff                               // 000000005488: 8652FF52 00FFFFFF
	s_cmp_lt_u32 s82, s66                                      // 000000005490: BF0A4252
	s_cselect_b32 s21, s36, s60                                // 000000005494: 85153C24
	s_mov_b64 exec, s[20:21]                                   // 000000005498: BEFE0114
	global_atomic_add_f32 v6, v82, s[8:9] offset:8             // 00000000549C: DD348008 00085206
	global_atomic_add_f32 v6, v86, s[8:9] offset:264           // 0000000054A4: DD348108 00085606
	s_mov_b64 exec, s[36:37]                                   // 0000000054AC: BEFE0124
	v_mov_b32_e32 v6, v43                                      // 0000000054B0: 7E0C032B
	s_mov_b64 s[60:61], 0                                      // 0000000054B4: BEBC0180
	v_readlane_b32 s82, v3, 6                                  // 0000000054B8: D2890052 00010D03
	s_and_b32 s82, s82, 0xffffff                               // 0000000054C0: 8652FF52 00FFFFFF
	s_cmp_lt_u32 s82, s66                                      // 0000000054C8: BF0A4252
	s_cselect_b32 s20, s36, s60                                // 0000000054CC: 85143C24
	v_readlane_b32 s82, v3, 7                                  // 0000000054D0: D2890052 00010F03
	s_and_b32 s82, s82, 0xffffff                               // 0000000054D8: 8652FF52 00FFFFFF
	s_cmp_lt_u32 s82, s66                                      // 0000000054E0: BF0A4252
	s_cselect_b32 s21, s36, s60                                // 0000000054E4: 85153C24
	s_mov_b64 exec, s[20:21]                                   // 0000000054E8: BEFE0114
	global_atomic_add_f32 v6, v83, s[8:9] offset:8             // 0000000054EC: DD348008 00085306
	global_atomic_add_f32 v6, v87, s[8:9] offset:264           // 0000000054F4: DD348108 00085706
	s_mov_b64 exec, s[36:37]                                   // 0000000054FC: BEFE0124
	v_mov_b32_e32 v6, v44                                      // 000000005500: 7E0C032C
	s_mov_b64 s[60:61], 0                                      // 000000005504: BEBC0180
	v_readlane_b32 s82, v3, 8                                  // 000000005508: D2890052 00011103
	s_and_b32 s82, s82, 0xffffff                               // 000000005510: 8652FF52 00FFFFFF
	s_cmp_lt_u32 s82, s66                                      // 000000005518: BF0A4252
	s_cselect_b32 s20, s36, s60                                // 00000000551C: 85143C24
	v_readlane_b32 s82, v3, 9                                  // 000000005520: D2890052 00011303
	s_and_b32 s82, s82, 0xffffff                               // 000000005528: 8652FF52 00FFFFFF
	s_cmp_lt_u32 s82, s66                                      // 000000005530: BF0A4252
	s_cselect_b32 s21, s36, s60                                // 000000005534: 85153C24
	s_mov_b64 exec, s[20:21]                                   // 000000005538: BEFE0114
	global_atomic_add_f32 v6, v90, s[8:9] offset:8             // 00000000553C: DD348008 00085A06
	global_atomic_add_f32 v6, v94, s[8:9] offset:264           // 000000005544: DD348108 00085E06
	s_mov_b64 exec, s[36:37]                                   // 00000000554C: BEFE0124
	v_mov_b32_e32 v6, v45                                      // 000000005550: 7E0C032D
	s_mov_b64 s[60:61], 0                                      // 000000005554: BEBC0180
	v_readlane_b32 s82, v3, 10                                 // 000000005558: D2890052 00011503
	s_and_b32 s82, s82, 0xffffff                               // 000000005560: 8652FF52 00FFFFFF
	s_cmp_lt_u32 s82, s66                                      // 000000005568: BF0A4252
	s_cselect_b32 s20, s36, s60                                // 00000000556C: 85143C24
	v_readlane_b32 s82, v3, 11                                 // 000000005570: D2890052 00011703
	s_and_b32 s82, s82, 0xffffff                               // 000000005578: 8652FF52 00FFFFFF
	s_cmp_lt_u32 s82, s66                                      // 000000005580: BF0A4252
	s_cselect_b32 s21, s36, s60                                // 000000005584: 85153C24
	s_mov_b64 exec, s[20:21]                                   // 000000005588: BEFE0114
	global_atomic_add_f32 v6, v91, s[8:9] offset:8             // 00000000558C: DD348008 00085B06
	global_atomic_add_f32 v6, v95, s[8:9] offset:264           // 000000005594: DD348108 00085F06
	s_mov_b64 exec, s[36:37]                                   // 00000000559C: BEFE0124
	s_branch label_13C4                                        // 0000000055A0: BF8208D8

00000000000055a4 <label_0AEC>:
	s_waitcnt vmcnt(2) lgkmcnt(0)                              // 0000000055A4: BF8C0072
	s_barrier                                                  // 0000000055A8: BF8A0000
	v_mfma_i32_16x16x32_i8 v[48:51], a[48:49], a[0:1], v[48:51]// 0000000055AC: D3D70030 1CC20130
	buffer_load_dwordx4 a[64:67], v46, s[84:87], 0 offen       // 0000000055B4: E05C1000 8095402E
	v_mfma_i32_16x16x32_i8 v[48:51], a[50:51], a[2:3], v[48:51]// 0000000055BC: D3D70030 1CC20532
	v_mfma_i32_16x16x32_i8 v[48:51], a[52:53], a[4:5], v[48:51]// 0000000055C4: D3D70030 1CC20934
	v_mfma_i32_16x16x32_i8 v[48:51], a[54:55], a[6:7], v[48:51]// 0000000055CC: D3D70030 1CC20D36
	v_mfma_i32_16x16x32_i8 v[52:55], a[48:49], a[8:9], v[52:55]// 0000000055D4: D3D70034 1CD21130
	buffer_load_dwordx4 a[68:71], v46, s[84:87], 0 offen offset:1024// 0000000055DC: E05C1400 8095442E
	v_mfma_i32_16x16x32_i8 v[52:55], a[50:51], a[10:11], v[52:55]// 0000000055E4: D3D70034 1CD21532
	v_mfma_i32_16x16x32_i8 v[52:55], a[52:53], a[12:13], v[52:55]// 0000000055EC: D3D70034 1CD21934
	v_mfma_i32_16x16x32_i8 v[52:55], a[54:55], a[14:15], v[52:55]// 0000000055F4: D3D70034 1CD21D36
	v_mfma_i32_16x16x32_i8 v[56:59], a[48:49], a[16:17], v[56:59]// 0000000055FC: D3D70038 1CE22130
	buffer_load_dwordx4 a[72:75], v47, s[84:87], 0 offen       // 000000005604: E05C1000 8095482F
	v_mfma_i32_16x16x32_i8 v[56:59], a[50:51], a[18:19], v[56:59]// 00000000560C: D3D70038 1CE22532
	v_mfma_i32_16x16x32_i8 v[56:59], a[52:53], a[20:21], v[56:59]// 000000005614: D3D70038 1CE22934
	v_mfma_i32_16x16x32_i8 v[56:59], a[54:55], a[22:23], v[56:59]// 00000000561C: D3D70038 1CE22D36
	s_waitcnt vmcnt(3)                                         // 000000005624: BF8C0F73
	v_mfma_i32_16x16x32_i8 v[60:63], a[56:57], a[0:1], v[60:63]// 000000005628: D3D7003C 1CF20138
	buffer_load_dwordx4 a[76:79], v47, s[84:87], 0 offen offset:1024// 000000005630: E05C1400 80954C2F
	buffer_load_dword v40, s[20:23], 0 offen lds               // 000000005638: E0511000 80050028
	s_add_u32 m0, 0x100, s48                                   // 000000005640: 807C30FF 00000100
	v_mfma_i32_16x16x32_i8 v[60:63], a[58:59], a[2:3], v[60:63]// 000000005648: D3D7003C 1CF2053A
	v_mfma_i32_16x16x32_i8 v[60:63], a[60:61], a[4:5], v[60:63]// 000000005650: D3D7003C 1CF2093C
	buffer_load_dword v41, s[20:23], 0 offen lds               // 000000005658: E0511000 80050029
	s_add_u32 m0, 0x200, s48                                   // 000000005660: 807C30FF 00000200
	v_mfma_i32_16x16x32_i8 v[60:63], a[62:63], a[6:7], v[60:63]// 000000005668: D3D7003C 1CF20D3E
	v_mfma_i32_16x16x32_i8 v[64:67], a[56:57], a[8:9], v[64:67]// 000000005670: D3D70040 1D021138
	buffer_load_dword v42, s[20:23], 0 offen lds               // 000000005678: E0511000 8005002A
	s_add_u32 m0, 0x300, s48                                   // 000000005680: 807C30FF 00000300
	v_mfma_i32_16x16x32_i8 v[64:67], a[58:59], a[10:11], v[64:67]// 000000005688: D3D70040 1D02153A
	v_mfma_i32_16x16x32_i8 v[64:67], a[60:61], a[12:13], v[64:67]// 000000005690: D3D70040 1D02193C
	buffer_load_dword v43, s[20:23], 0 offen lds               // 000000005698: E0511000 8005002B
	s_add_u32 m0, 0x400, s48                                   // 0000000056A0: 807C30FF 00000400
	v_mfma_i32_16x16x32_i8 v[64:67], a[62:63], a[14:15], v[64:67]// 0000000056A8: D3D70040 1D021D3E
	v_mfma_i32_16x16x32_i8 v[68:71], a[56:57], a[16:17], v[68:71]// 0000000056B0: D3D70044 1D122138
	buffer_load_dword v44, s[20:23], 0 offen lds               // 0000000056B8: E0511000 8005002C
	s_add_u32 m0, 0x500, s48                                   // 0000000056C0: 807C30FF 00000500
	v_mfma_i32_16x16x32_i8 v[68:71], a[58:59], a[18:19], v[68:71]// 0000000056C8: D3D70044 1D12253A
	s_add_u32 s60, 0x80, s80                                   // 0000000056D0: 803C50FF 00000080
	s_cmp_lt_u32 s60, s81                                      // 0000000056D8: BF0A513C
	s_cselect_b32 s83, s83, 0                                  // 0000000056DC: 85538053
	v_mfma_i32_16x16x32_i8 v[68:71], a[60:61], a[20:21], v[68:71]// 0000000056E0: D3D70044 1D12293C
	buffer_load_dword v45, s[20:23], 0 offen lds               // 0000000056E8: E0511000 8005002D
	s_add_u32 m0, 0, s49                                       // 0000000056F0: 807C3180
	v_mfma_i32_16x16x32_i8 v[68:71], a[62:63], a[22:23], v[68:71]// 0000000056F4: D3D70044 1D122D3E
	s_waitcnt vmcnt(6)                                         // 0000000056FC: BF8C0F76
	v_mfma_i32_16x16x32_i8 v[72:75], a[64:65], a[0:1], v[72:75]// 000000005700: D3D70048 1D220140
	buffer_load_dwordx4 a[48:51], v46, s[24:27], 0 offen       // 000000005708: E05C1000 8086302E
	v_mfma_i32_16x16x32_i8 v[72:75], a[66:67], a[2:3], v[72:75]// 000000005710: D3D70048 1D220542
	v_mfma_i32_16x16x32_i8 v[72:75], a[68:69], a[4:5], v[72:75]// 000000005718: D3D70048 1D220944
	ds_read_b128 a[24:27], v2 offset:6272                      // 000000005720: DBFE1880 18000002
	ds_read_b128 a[28:31], v2 offset:6336                      // 000000005728: DBFE18C0 1C000002
	v_mfma_i32_16x16x32_i8 v[72:75], a[70:71], a[6:7], v[72:75]// 000000005730: D3D70048 1D220D46
	v_mfma_i32_16x16x32_i8 v[84:87], a[72:73], a[0:1], v[84:87]// 000000005738: D3D70054 1D520148
	buffer_load_dwordx4 a[52:55], v46, s[24:27], 0 offen offset:1024// 000000005740: E05C1400 8086342E
	v_mfma_i32_16x16x32_i8 v[84:87], a[74:75], a[2:3], v[84:87]// 000000005748: D3D70054 1D52054A
	v_mfma_i32_16x16x32_i8 v[84:87], a[76:77], a[4:5], v[84:87]// 000000005750: D3D70054 1D52094C
	ds_read_b128 a[32:35], v2 offset:6784                      // 000000005758: DBFE1A80 20000002
	ds_read_b128 a[36:39], v2 offset:6848                      // 000000005760: DBFE1AC0 24000002
	v_mfma_i32_16x16x32_i8 v[84:87], a[78:79], a[6:7], v[84:87]// 000000005768: D3D70054 1D520D4E
	v_mfma_i32_16x16x32_i8 v[76:79], a[64:65], a[8:9], v[76:79]// 000000005770: D3D7004C 1D321140
	buffer_load_dwordx4 a[56:59], v47, s[24:27], 0 offen       // 000000005778: E05C1000 8086382F
	v_mfma_i32_16x16x32_i8 v[76:79], a[66:67], a[10:11], v[76:79]// 000000005780: D3D7004C 1D321542
	v_mfma_i32_16x16x32_i8 v[76:79], a[68:69], a[12:13], v[76:79]// 000000005788: D3D7004C 1D321944
	ds_read_b128 a[40:43], v2 offset:7296                      // 000000005790: DBFE1C80 28000002
	ds_read_b128 a[44:47], v2 offset:7360                      // 000000005798: DBFE1CC0 2C000002
	v_mfma_i32_16x16x32_i8 v[76:79], a[70:71], a[14:15], v[76:79]// 0000000057A0: D3D7004C 1D321D46
	v_mfma_i32_16x16x32_i8 v[88:91], a[72:73], a[8:9], v[88:91]// 0000000057A8: D3D70058 1D621148
	buffer_load_dwordx4 a[60:63], v47, s[24:27], 0 offen offset:1024// 0000000057B0: E05C1400 80863C2F
	v_mfma_i32_16x16x32_i8 v[88:91], a[74:75], a[10:11], v[88:91]// 0000000057B8: D3D70058 1D62154A
	v_mfma_i32_16x16x32_i8 v[88:91], a[76:77], a[12:13], v[88:91]// 0000000057C0: D3D70058 1D62194C
	v_mfma_i32_16x16x32_i8 v[88:91], a[78:79], a[14:15], v[88:91]// 0000000057C8: D3D70058 1D621D4E
	v_mfma_i32_16x16x32_i8 v[80:83], a[64:65], a[16:17], v[80:83]// 0000000057D0: D3D70050 1D422140
	v_mfma_i32_16x16x32_i8 v[80:83], a[66:67], a[18:19], v[80:83]// 0000000057D8: D3D70050 1D422542
	v_mfma_i32_16x16x32_i8 v[80:83], a[68:69], a[20:21], v[80:83]// 0000000057E0: D3D70050 1D422944
	s_add_u32 s60, 0x180, s80                                  // 0000000057E8: 803C50FF 00000180
	s_cmp_lt_u32 s60, s81                                      // 0000000057F0: BF0A513C
	s_cselect_b32 s57, s57, 0                                  // 0000000057F4: 85398039
	v_mfma_i32_16x16x32_i8 v[80:83], a[70:71], a[22:23], v[80:83]// 0000000057F8: D3D70050 1D422D46
	s_add_u32 s60, 0x100, s80                                  // 000000005800: 803C50FF 00000100
	s_cmp_lt_u32 s60, s81                                      // 000000005808: BF0A513C
	s_cselect_b32 s58, s58, 0                                  // 00000000580C: 853A803A
	v_mfma_i32_16x16x32_i8 v[92:95], a[72:73], a[16:17], v[92:95]// 000000005810: D3D7005C 1D722148
	s_add_u32 s24, s58, s24                                    // 000000005818: 8018183A
	s_addc_u32 s25, 0, s25                                     // 00000000581C: 82191980
	v_mfma_i32_16x16x32_i8 v[92:95], a[74:75], a[18:19], v[92:95]// 000000005820: D3D7005C 1D72254A
	s_add_u32 s20, s57, s20                                    // 000000005828: 80141439
	s_addc_u32 s21, 0, s21                                     // 00000000582C: 82151580
	v_mfma_i32_16x16x32_i8 v[92:95], a[76:77], a[20:21], v[92:95]// 000000005830: D3D7005C 1D72294C
	s_add_u32 s84, s83, s84                                    // 000000005838: 80545453
	s_addc_u32 s85, 0, s85                                     // 00000000583C: 82555580
	v_mfma_i32_16x16x32_i8 v[92:95], a[78:79], a[22:23], v[92:95]// 000000005840: D3D7005C 1D722D4E
	s_addk_i32 s80, 0x80                                       // 000000005848: B7500080
	s_cmp_lt_i32 s80, s81                                      // 00000000584C: BF045150
	s_cbranch_scc0 label_0C45                                  // 000000005850: BF8400AD
	s_waitcnt vmcnt(2) lgkmcnt(0)                              // 000000005854: BF8C0072
	s_barrier                                                  // 000000005858: BF8A0000
	v_mfma_i32_16x16x32_i8 v[48:51], a[48:49], a[24:25], v[48:51]// 00000000585C: D3D70030 1CC23130
	buffer_load_dwordx4 a[64:67], v46, s[84:87], 0 offen       // 000000005864: E05C1000 8095402E
	v_mfma_i32_16x16x32_i8 v[48:51], a[50:51], a[26:27], v[48:51]// 00000000586C: D3D70030 1CC23532
	v_mfma_i32_16x16x32_i8 v[48:51], a[52:53], a[28:29], v[48:51]// 000000005874: D3D70030 1CC23934
	v_mfma_i32_16x16x32_i8 v[48:51], a[54:55], a[30:31], v[48:51]// 00000000587C: D3D70030 1CC23D36
	v_mfma_i32_16x16x32_i8 v[52:55], a[48:49], a[32:33], v[52:55]// 000000005884: D3D70034 1CD24130
	buffer_load_dwordx4 a[68:71], v46, s[84:87], 0 offen offset:1024// 00000000588C: E05C1400 8095442E
	v_mfma_i32_16x16x32_i8 v[52:55], a[50:51], a[34:35], v[52:55]// 000000005894: D3D70034 1CD24532
	v_mfma_i32_16x16x32_i8 v[52:55], a[52:53], a[36:37], v[52:55]// 00000000589C: D3D70034 1CD24934
	v_mfma_i32_16x16x32_i8 v[52:55], a[54:55], a[38:39], v[52:55]// 0000000058A4: D3D70034 1CD24D36
	v_mfma_i32_16x16x32_i8 v[56:59], a[48:49], a[40:41], v[56:59]// 0000000058AC: D3D70038 1CE25130
	buffer_load_dwordx4 a[72:75], v47, s[84:87], 0 offen       // 0000000058B4: E05C1000 8095482F
	v_mfma_i32_16x16x32_i8 v[56:59], a[50:51], a[42:43], v[56:59]// 0000000058BC: D3D70038 1CE25532
	v_mfma_i32_16x16x32_i8 v[56:59], a[52:53], a[44:45], v[56:59]// 0000000058C4: D3D70038 1CE25934
	v_mfma_i32_16x16x32_i8 v[56:59], a[54:55], a[46:47], v[56:59]// 0000000058CC: D3D70038 1CE25D36
	s_waitcnt vmcnt(3)                                         // 0000000058D4: BF8C0F73
	v_mfma_i32_16x16x32_i8 v[60:63], a[56:57], a[24:25], v[60:63]// 0000000058D8: D3D7003C 1CF23138
	buffer_load_dwordx4 a[76:79], v47, s[84:87], 0 offen offset:1024// 0000000058E0: E05C1400 80954C2F
	buffer_load_dword v40, s[20:23], 0 offen lds               // 0000000058E8: E0511000 80050028
	s_add_u32 m0, 0x100, s49                                   // 0000000058F0: 807C31FF 00000100
	v_mfma_i32_16x16x32_i8 v[60:63], a[58:59], a[26:27], v[60:63]// 0000000058F8: D3D7003C 1CF2353A
	v_mfma_i32_16x16x32_i8 v[60:63], a[60:61], a[28:29], v[60:63]// 000000005900: D3D7003C 1CF2393C
	buffer_load_dword v41, s[20:23], 0 offen lds               // 000000005908: E0511000 80050029
	s_add_u32 m0, 0x200, s49                                   // 000000005910: 807C31FF 00000200
	v_mfma_i32_16x16x32_i8 v[60:63], a[62:63], a[30:31], v[60:63]// 000000005918: D3D7003C 1CF23D3E
	v_mfma_i32_16x16x32_i8 v[64:67], a[56:57], a[32:33], v[64:67]// 000000005920: D3D70040 1D024138
	buffer_load_dword v42, s[20:23], 0 offen lds               // 000000005928: E0511000 8005002A
	s_add_u32 m0, 0x300, s49                                   // 000000005930: 807C31FF 00000300
	v_mfma_i32_16x16x32_i8 v[64:67], a[58:59], a[34:35], v[64:67]// 000000005938: D3D70040 1D02453A
	v_mfma_i32_16x16x32_i8 v[64:67], a[60:61], a[36:37], v[64:67]// 000000005940: D3D70040 1D02493C
	buffer_load_dword v43, s[20:23], 0 offen lds               // 000000005948: E0511000 8005002B
	s_add_u32 m0, 0x400, s49                                   // 000000005950: 807C31FF 00000400
	v_mfma_i32_16x16x32_i8 v[64:67], a[62:63], a[38:39], v[64:67]// 000000005958: D3D70040 1D024D3E
	v_mfma_i32_16x16x32_i8 v[68:71], a[56:57], a[40:41], v[68:71]// 000000005960: D3D70044 1D125138
	buffer_load_dword v44, s[20:23], 0 offen lds               // 000000005968: E0511000 8005002C
	s_add_u32 m0, 0x500, s49                                   // 000000005970: 807C31FF 00000500
	v_mfma_i32_16x16x32_i8 v[68:71], a[58:59], a[42:43], v[68:71]// 000000005978: D3D70044 1D12553A
	s_add_u32 s60, 0x80, s80                                   // 000000005980: 803C50FF 00000080
	s_cmp_lt_u32 s60, s81                                      // 000000005988: BF0A513C
	s_cselect_b32 s83, s83, 0                                  // 00000000598C: 85538053
	v_mfma_i32_16x16x32_i8 v[68:71], a[60:61], a[44:45], v[68:71]// 000000005990: D3D70044 1D12593C
	buffer_load_dword v45, s[20:23], 0 offen lds               // 000000005998: E0511000 8005002D
	s_add_u32 m0, 0, s48                                       // 0000000059A0: 807C3080
	v_mfma_i32_16x16x32_i8 v[68:71], a[62:63], a[46:47], v[68:71]// 0000000059A4: D3D70044 1D125D3E
	s_waitcnt vmcnt(6)                                         // 0000000059AC: BF8C0F76
	v_mfma_i32_16x16x32_i8 v[72:75], a[64:65], a[24:25], v[72:75]// 0000000059B0: D3D70048 1D223140
	buffer_load_dwordx4 a[48:51], v46, s[24:27], 0 offen       // 0000000059B8: E05C1000 8086302E
	v_mfma_i32_16x16x32_i8 v[72:75], a[66:67], a[26:27], v[72:75]// 0000000059C0: D3D70048 1D223542
	v_mfma_i32_16x16x32_i8 v[72:75], a[68:69], a[28:29], v[72:75]// 0000000059C8: D3D70048 1D223944
	ds_read_b128 a[0:3], v2                                    // 0000000059D0: DBFE0000 00000002
	ds_read_b128 a[4:7], v2 offset:64                          // 0000000059D8: DBFE0040 04000002
	v_mfma_i32_16x16x32_i8 v[72:75], a[70:71], a[30:31], v[72:75]// 0000000059E0: D3D70048 1D223D46
	v_mfma_i32_16x16x32_i8 v[84:87], a[72:73], a[24:25], v[84:87]// 0000000059E8: D3D70054 1D523148
	buffer_load_dwordx4 a[52:55], v46, s[24:27], 0 offen offset:1024// 0000000059F0: E05C1400 8086342E
	v_mfma_i32_16x16x32_i8 v[84:87], a[74:75], a[26:27], v[84:87]// 0000000059F8: D3D70054 1D52354A
	v_mfma_i32_16x16x32_i8 v[84:87], a[76:77], a[28:29], v[84:87]// 000000005A00: D3D70054 1D52394C
	ds_read_b128 a[8:11], v2 offset:512                        // 000000005A08: DBFE0200 08000002
	ds_read_b128 a[12:15], v2 offset:576                       // 000000005A10: DBFE0240 0C000002
	v_mfma_i32_16x16x32_i8 v[84:87], a[78:79], a[30:31], v[84:87]// 000000005A18: D3D70054 1D523D4E
	v_mfma_i32_16x16x32_i8 v[76:79], a[64:65], a[32:33], v[76:79]// 000000005A20: D3D7004C 1D324140
	buffer_load_dwordx4 a[56:59], v47, s[24:27], 0 offen       // 000000005A28: E05C1000 8086382F
	v_mfma_i32_16x16x32_i8 v[76:79], a[66:67], a[34:35], v[76:79]// 000000005A30: D3D7004C 1D324542
	v_mfma_i32_16x16x32_i8 v[76:79], a[68:69], a[36:37], v[76:79]// 000000005A38: D3D7004C 1D324944
	ds_read_b128 a[16:19], v2 offset:1024                      // 000000005A40: DBFE0400 10000002
	ds_read_b128 a[20:23], v2 offset:1088                      // 000000005A48: DBFE0440 14000002
	v_mfma_i32_16x16x32_i8 v[76:79], a[70:71], a[38:39], v[76:79]// 000000005A50: D3D7004C 1D324D46
	v_mfma_i32_16x16x32_i8 v[88:91], a[72:73], a[32:33], v[88:91]// 000000005A58: D3D70058 1D624148
	buffer_load_dwordx4 a[60:63], v47, s[24:27], 0 offen offset:1024// 000000005A60: E05C1400 80863C2F
	v_mfma_i32_16x16x32_i8 v[88:91], a[74:75], a[34:35], v[88:91]// 000000005A68: D3D70058 1D62454A
	v_mfma_i32_16x16x32_i8 v[88:91], a[76:77], a[36:37], v[88:91]// 000000005A70: D3D70058 1D62494C
	v_mfma_i32_16x16x32_i8 v[88:91], a[78:79], a[38:39], v[88:91]// 000000005A78: D3D70058 1D624D4E
	v_mfma_i32_16x16x32_i8 v[80:83], a[64:65], a[40:41], v[80:83]// 000000005A80: D3D70050 1D425140
	v_mfma_i32_16x16x32_i8 v[80:83], a[66:67], a[42:43], v[80:83]// 000000005A88: D3D70050 1D425542
	v_mfma_i32_16x16x32_i8 v[80:83], a[68:69], a[44:45], v[80:83]// 000000005A90: D3D70050 1D425944
	s_add_u32 s60, 0x180, s80                                  // 000000005A98: 803C50FF 00000180
	s_cmp_lt_u32 s60, s81                                      // 000000005AA0: BF0A513C
	s_cselect_b32 s57, s57, 0                                  // 000000005AA4: 85398039
	v_mfma_i32_16x16x32_i8 v[80:83], a[70:71], a[46:47], v[80:83]// 000000005AA8: D3D70050 1D425D46
	s_add_u32 s60, 0x100, s80                                  // 000000005AB0: 803C50FF 00000100
	s_cmp_lt_u32 s60, s81                                      // 000000005AB8: BF0A513C
	s_cselect_b32 s58, s58, 0                                  // 000000005ABC: 853A803A
	v_mfma_i32_16x16x32_i8 v[92:95], a[72:73], a[40:41], v[92:95]// 000000005AC0: D3D7005C 1D725148
	s_add_u32 s24, s58, s24                                    // 000000005AC8: 8018183A
	s_addc_u32 s25, 0, s25                                     // 000000005ACC: 82191980
	v_mfma_i32_16x16x32_i8 v[92:95], a[74:75], a[42:43], v[92:95]// 000000005AD0: D3D7005C 1D72554A
	s_add_u32 s20, s57, s20                                    // 000000005AD8: 80141439
	s_addc_u32 s21, 0, s21                                     // 000000005ADC: 82151580
	v_mfma_i32_16x16x32_i8 v[92:95], a[76:77], a[44:45], v[92:95]// 000000005AE0: D3D7005C 1D72594C
	s_add_u32 s84, s83, s84                                    // 000000005AE8: 80545453
	s_addc_u32 s85, 0, s85                                     // 000000005AEC: 82555580
	v_mfma_i32_16x16x32_i8 v[92:95], a[78:79], a[46:47], v[92:95]// 000000005AF0: D3D7005C 1D725D4E
	s_addk_i32 s80, 0x80                                       // 000000005AF8: B7500080
	s_cmp_lt_i32 s80, s81                                      // 000000005AFC: BF045150
	s_cbranch_scc0 label_0C45                                  // 000000005B00: BF840001
	s_branch label_0AEC                                        // 000000005B04: BF82FEA7

0000000000005b08 <label_0C45>:
	v_cvt_f32_i32_e32 v48, v48                                 // 000000005B08: 7E600B30
	v_cvt_f32_i32_e32 v49, v49                                 // 000000005B0C: 7E620B31
	v_cvt_f32_i32_e32 v50, v50                                 // 000000005B10: 7E640B32
	v_cvt_f32_i32_e32 v51, v51                                 // 000000005B14: 7E660B33
	v_mul_f32_dpp v48, v24, v48 row_newbcast:0 row_mask:0xf bank_mask:0xf// 000000005B18: 0A6060FA FF015018
	v_mul_f32_dpp v49, v24, v49 row_newbcast:1 row_mask:0xf bank_mask:0xf// 000000005B20: 0A6262FA FF015118
	v_mul_f32_dpp v50, v24, v50 row_newbcast:2 row_mask:0xf bank_mask:0xf// 000000005B28: 0A6464FA FF015218
	v_mul_f32_dpp v51, v24, v51 row_newbcast:3 row_mask:0xf bank_mask:0xf// 000000005B30: 0A6666FA FF015318
	v_cvt_f32_i32_e32 v52, v52                                 // 000000005B38: 7E680B34
	v_cvt_f32_i32_e32 v53, v53                                 // 000000005B3C: 7E6A0B35
	v_cvt_f32_i32_e32 v54, v54                                 // 000000005B40: 7E6C0B36
	v_cvt_f32_i32_e32 v55, v55                                 // 000000005B44: 7E6E0B37
	v_mul_f32_dpp v52, v24, v52 row_newbcast:0 row_mask:0xf bank_mask:0xf// 000000005B48: 0A6868FA FF015018
	v_mul_f32_dpp v53, v24, v53 row_newbcast:1 row_mask:0xf bank_mask:0xf// 000000005B50: 0A6A6AFA FF015118
	v_mul_f32_dpp v54, v24, v54 row_newbcast:2 row_mask:0xf bank_mask:0xf// 000000005B58: 0A6C6CFA FF015218
	v_mul_f32_dpp v55, v24, v55 row_newbcast:3 row_mask:0xf bank_mask:0xf// 000000005B60: 0A6E6EFA FF015318
	v_cvt_f32_i32_e32 v56, v56                                 // 000000005B68: 7E700B38
	v_cvt_f32_i32_e32 v57, v57                                 // 000000005B6C: 7E720B39
	v_cvt_f32_i32_e32 v58, v58                                 // 000000005B70: 7E740B3A
	v_cvt_f32_i32_e32 v59, v59                                 // 000000005B74: 7E760B3B
	v_mul_f32_dpp v56, v24, v56 row_newbcast:0 row_mask:0xf bank_mask:0xf// 000000005B78: 0A7070FA FF015018
	v_mul_f32_dpp v57, v24, v57 row_newbcast:1 row_mask:0xf bank_mask:0xf// 000000005B80: 0A7272FA FF015118
	v_mul_f32_dpp v58, v24, v58 row_newbcast:2 row_mask:0xf bank_mask:0xf// 000000005B88: 0A7474FA FF015218
	v_mul_f32_dpp v59, v24, v59 row_newbcast:3 row_mask:0xf bank_mask:0xf// 000000005B90: 0A7676FA FF015318
	v_cvt_f32_i32_e32 v60, v60                                 // 000000005B98: 7E780B3C
	v_cvt_f32_i32_e32 v61, v61                                 // 000000005B9C: 7E7A0B3D
	v_cvt_f32_i32_e32 v62, v62                                 // 000000005BA0: 7E7C0B3E
	v_cvt_f32_i32_e32 v63, v63                                 // 000000005BA4: 7E7E0B3F
	v_mul_f32_dpp v60, v24, v60 row_newbcast:4 row_mask:0xf bank_mask:0xf// 000000005BA8: 0A7878FA FF015418
	v_mul_f32_dpp v61, v24, v61 row_newbcast:5 row_mask:0xf bank_mask:0xf// 000000005BB0: 0A7A7AFA FF015518
	v_mul_f32_dpp v62, v24, v62 row_newbcast:6 row_mask:0xf bank_mask:0xf// 000000005BB8: 0A7C7CFA FF015618
	v_mul_f32_dpp v63, v24, v63 row_newbcast:7 row_mask:0xf bank_mask:0xf// 000000005BC0: 0A7E7EFA FF015718
	v_cvt_f32_i32_e32 v64, v64                                 // 000000005BC8: 7E800B40
	v_cvt_f32_i32_e32 v65, v65                                 // 000000005BCC: 7E820B41
	v_cvt_f32_i32_e32 v66, v66                                 // 000000005BD0: 7E840B42
	v_cvt_f32_i32_e32 v67, v67                                 // 000000005BD4: 7E860B43
	v_mul_f32_dpp v64, v24, v64 row_newbcast:4 row_mask:0xf bank_mask:0xf// 000000005BD8: 0A8080FA FF015418
	v_mul_f32_dpp v65, v24, v65 row_newbcast:5 row_mask:0xf bank_mask:0xf// 000000005BE0: 0A8282FA FF015518
	v_mul_f32_dpp v66, v24, v66 row_newbcast:6 row_mask:0xf bank_mask:0xf// 000000005BE8: 0A8484FA FF015618
	v_mul_f32_dpp v67, v24, v67 row_newbcast:7 row_mask:0xf bank_mask:0xf// 000000005BF0: 0A8686FA FF015718
	v_cvt_f32_i32_e32 v68, v68                                 // 000000005BF8: 7E880B44
	v_cvt_f32_i32_e32 v69, v69                                 // 000000005BFC: 7E8A0B45
	v_cvt_f32_i32_e32 v70, v70                                 // 000000005C00: 7E8C0B46
	v_cvt_f32_i32_e32 v71, v71                                 // 000000005C04: 7E8E0B47
	v_mul_f32_dpp v68, v24, v68 row_newbcast:4 row_mask:0xf bank_mask:0xf// 000000005C08: 0A8888FA FF015418
	v_mul_f32_dpp v69, v24, v69 row_newbcast:5 row_mask:0xf bank_mask:0xf// 000000005C10: 0A8A8AFA FF015518
	v_mul_f32_dpp v70, v24, v70 row_newbcast:6 row_mask:0xf bank_mask:0xf// 000000005C18: 0A8C8CFA FF015618
	v_mul_f32_dpp v71, v24, v71 row_newbcast:7 row_mask:0xf bank_mask:0xf// 000000005C20: 0A8E8EFA FF015718
	v_cvt_f32_i32_e32 v72, v72                                 // 000000005C28: 7E900B48
	v_cvt_f32_i32_e32 v73, v73                                 // 000000005C2C: 7E920B49
	v_cvt_f32_i32_e32 v74, v74                                 // 000000005C30: 7E940B4A
	v_cvt_f32_i32_e32 v75, v75                                 // 000000005C34: 7E960B4B
	v_mul_f32_dpp v72, v26, v72 row_newbcast:0 row_mask:0xf bank_mask:0xf// 000000005C38: 0A9090FA FF01501A
	v_mul_f32_dpp v73, v26, v73 row_newbcast:1 row_mask:0xf bank_mask:0xf// 000000005C40: 0A9292FA FF01511A
	v_mul_f32_dpp v74, v26, v74 row_newbcast:2 row_mask:0xf bank_mask:0xf// 000000005C48: 0A9494FA FF01521A
	v_mul_f32_dpp v75, v26, v75 row_newbcast:3 row_mask:0xf bank_mask:0xf// 000000005C50: 0A9696FA FF01531A
	v_cvt_f32_i32_e32 v76, v76                                 // 000000005C58: 7E980B4C
	v_cvt_f32_i32_e32 v77, v77                                 // 000000005C5C: 7E9A0B4D
	v_cvt_f32_i32_e32 v78, v78                                 // 000000005C60: 7E9C0B4E
	v_cvt_f32_i32_e32 v79, v79                                 // 000000005C64: 7E9E0B4F
	v_mul_f32_dpp v76, v26, v76 row_newbcast:0 row_mask:0xf bank_mask:0xf// 000000005C68: 0A9898FA FF01501A
	v_mul_f32_dpp v77, v26, v77 row_newbcast:1 row_mask:0xf bank_mask:0xf// 000000005C70: 0A9A9AFA FF01511A
	v_mul_f32_dpp v78, v26, v78 row_newbcast:2 row_mask:0xf bank_mask:0xf// 000000005C78: 0A9C9CFA FF01521A
	v_mul_f32_dpp v79, v26, v79 row_newbcast:3 row_mask:0xf bank_mask:0xf// 000000005C80: 0A9E9EFA FF01531A
	v_cvt_f32_i32_e32 v80, v80                                 // 000000005C88: 7EA00B50
	v_cvt_f32_i32_e32 v81, v81                                 // 000000005C8C: 7EA20B51
	v_cvt_f32_i32_e32 v82, v82                                 // 000000005C90: 7EA40B52
	v_cvt_f32_i32_e32 v83, v83                                 // 000000005C94: 7EA60B53
	v_mul_f32_dpp v80, v26, v80 row_newbcast:0 row_mask:0xf bank_mask:0xf// 000000005C98: 0AA0A0FA FF01501A
	v_mul_f32_dpp v81, v26, v81 row_newbcast:1 row_mask:0xf bank_mask:0xf// 000000005CA0: 0AA2A2FA FF01511A
	v_mul_f32_dpp v82, v26, v82 row_newbcast:2 row_mask:0xf bank_mask:0xf// 000000005CA8: 0AA4A4FA FF01521A
	v_mul_f32_dpp v83, v26, v83 row_newbcast:3 row_mask:0xf bank_mask:0xf// 000000005CB0: 0AA6A6FA FF01531A
	v_cvt_f32_i32_e32 v84, v84                                 // 000000005CB8: 7EA80B54
	v_cvt_f32_i32_e32 v85, v85                                 // 000000005CBC: 7EAA0B55
	v_cvt_f32_i32_e32 v86, v86                                 // 000000005CC0: 7EAC0B56
	v_cvt_f32_i32_e32 v87, v87                                 // 000000005CC4: 7EAE0B57
	v_mul_f32_dpp v84, v26, v84 row_newbcast:4 row_mask:0xf bank_mask:0xf// 000000005CC8: 0AA8A8FA FF01541A
	v_mul_f32_dpp v85, v26, v85 row_newbcast:5 row_mask:0xf bank_mask:0xf// 000000005CD0: 0AAAAAFA FF01551A
	v_mul_f32_dpp v86, v26, v86 row_newbcast:6 row_mask:0xf bank_mask:0xf// 000000005CD8: 0AACACFA FF01561A
	v_mul_f32_dpp v87, v26, v87 row_newbcast:7 row_mask:0xf bank_mask:0xf// 000000005CE0: 0AAEAEFA FF01571A
	v_cvt_f32_i32_e32 v88, v88                                 // 000000005CE8: 7EB00B58
	v_cvt_f32_i32_e32 v89, v89                                 // 000000005CEC: 7EB20B59
	v_cvt_f32_i32_e32 v90, v90                                 // 000000005CF0: 7EB40B5A
	v_cvt_f32_i32_e32 v91, v91                                 // 000000005CF4: 7EB60B5B
	v_mul_f32_dpp v88, v26, v88 row_newbcast:4 row_mask:0xf bank_mask:0xf// 000000005CF8: 0AB0B0FA FF01541A
	v_mul_f32_dpp v89, v26, v89 row_newbcast:5 row_mask:0xf bank_mask:0xf// 000000005D00: 0AB2B2FA FF01551A
	v_mul_f32_dpp v90, v26, v90 row_newbcast:6 row_mask:0xf bank_mask:0xf// 000000005D08: 0AB4B4FA FF01561A
	v_mul_f32_dpp v91, v26, v91 row_newbcast:7 row_mask:0xf bank_mask:0xf// 000000005D10: 0AB6B6FA FF01571A
	v_cvt_f32_i32_e32 v92, v92                                 // 000000005D18: 7EB80B5C
	v_cvt_f32_i32_e32 v93, v93                                 // 000000005D1C: 7EBA0B5D
	v_cvt_f32_i32_e32 v94, v94                                 // 000000005D20: 7EBC0B5E
	v_cvt_f32_i32_e32 v95, v95                                 // 000000005D24: 7EBE0B5F
	v_mul_f32_dpp v92, v26, v92 row_newbcast:4 row_mask:0xf bank_mask:0xf// 000000005D28: 0AB8B8FA FF01541A
	v_mul_f32_dpp v93, v26, v93 row_newbcast:5 row_mask:0xf bank_mask:0xf// 000000005D30: 0ABABAFA FF01551A
	v_mul_f32_dpp v94, v26, v94 row_newbcast:6 row_mask:0xf bank_mask:0xf// 000000005D38: 0ABCBCFA FF01561A
	v_mul_f32_dpp v95, v26, v95 row_newbcast:7 row_mask:0xf bank_mask:0xf// 000000005D40: 0ABEBEFA FF01571A
	v_mov_b32_e32 v4, v31                                      // 000000005D48: 7E08031F
	v_mov_b32_e32 v5, v4                                       // 000000005D4C: 7E0A0304
	v_pk_mul_f32 v[48:49], v[4:5], v[48:49]                    // 000000005D50: D3B14030 18026104
	v_pk_mul_f32 v[72:73], v[4:5], v[72:73]                    // 000000005D58: D3B14048 18029104
	v_pk_mul_f32 v[50:51], v[4:5], v[50:51]                    // 000000005D60: D3B14032 18026504
	v_pk_mul_f32 v[74:75], v[4:5], v[74:75]                    // 000000005D68: D3B1404A 18029504
	v_pk_mul_f32 v[60:61], v[4:5], v[60:61]                    // 000000005D70: D3B1403C 18027904
	v_pk_mul_f32 v[84:85], v[4:5], v[84:85]                    // 000000005D78: D3B14054 1802A904
	v_pk_mul_f32 v[62:63], v[4:5], v[62:63]                    // 000000005D80: D3B1403E 18027D04
	v_pk_mul_f32 v[86:87], v[4:5], v[86:87]                    // 000000005D88: D3B14056 1802AD04
	v_mov_b32_e32 v4, v32                                      // 000000005D90: 7E080320
	v_mov_b32_e32 v5, v4                                       // 000000005D94: 7E0A0304
	v_pk_mul_f32 v[52:53], v[4:5], v[52:53]                    // 000000005D98: D3B14034 18026904
	v_pk_mul_f32 v[76:77], v[4:5], v[76:77]                    // 000000005DA0: D3B1404C 18029904
	v_pk_mul_f32 v[54:55], v[4:5], v[54:55]                    // 000000005DA8: D3B14036 18026D04
	v_pk_mul_f32 v[78:79], v[4:5], v[78:79]                    // 000000005DB0: D3B1404E 18029D04
	v_pk_mul_f32 v[64:65], v[4:5], v[64:65]                    // 000000005DB8: D3B14040 18028104
	v_pk_mul_f32 v[88:89], v[4:5], v[88:89]                    // 000000005DC0: D3B14058 1802B104
	v_pk_mul_f32 v[66:67], v[4:5], v[66:67]                    // 000000005DC8: D3B14042 18028504
	v_pk_mul_f32 v[90:91], v[4:5], v[90:91]                    // 000000005DD0: D3B1405A 1802B504
	v_mov_b32_e32 v4, v33                                      // 000000005DD8: 7E080321
	v_mov_b32_e32 v5, v4                                       // 000000005DDC: 7E0A0304
	v_pk_mul_f32 v[56:57], v[4:5], v[56:57]                    // 000000005DE0: D3B14038 18027104
	v_pk_mul_f32 v[80:81], v[4:5], v[80:81]                    // 000000005DE8: D3B14050 1802A104
	v_pk_mul_f32 v[58:59], v[4:5], v[58:59]                    // 000000005DF0: D3B1403A 18027504
	v_pk_mul_f32 v[82:83], v[4:5], v[82:83]                    // 000000005DF8: D3B14052 1802A504
	v_pk_mul_f32 v[68:69], v[4:5], v[68:69]                    // 000000005E00: D3B14044 18028904
	v_pk_mul_f32 v[92:93], v[4:5], v[92:93]                    // 000000005E08: D3B1405C 1802B904
	v_pk_mul_f32 v[70:71], v[4:5], v[70:71]                    // 000000005E10: D3B14046 18028D04
	v_pk_mul_f32 v[94:95], v[4:5], v[94:95]                    // 000000005E18: D3B1405E 1802BD04
	s_cmp_eq_u32 s88, 0                                        // 000000005E20: BF068058
	s_cbranch_scc0 label_10A6                                  // 000000005E24: BF840399
	s_cmp_eq_u32 s89, 0                                        // 000000005E28: BF068059
	s_cbranch_scc1 label_0E04                                  // 000000005E2C: BF8500F5
	v_mov_b32_e32 v8, v1                                       // 000000005E30: 7E100301
	v_mov_b32_e32 v9, v1                                       // 000000005E34: 7E120301
	s_mov_b32 s60, s6                                          // 000000005E38: BEBC0006
	s_mov_b32 s61, s6                                          // 000000005E3C: BEBD0006
	v_pk_mul_f32 v[4:5], v[48:49], v[48:49]                    // 000000005E40: D3B14004 18026130
	v_pk_mul_f32 v[6:7], v[50:51], v[50:51]                    // 000000005E48: D3B14006 18026532
	v_pk_fma_f32 v[4:5], v[4:5], s[78:79], v[8:9]              // 000000005E50: D3B04004 1C209D04
	v_pk_fma_f32 v[6:7], v[6:7], s[78:79], v[8:9]              // 000000005E58: D3B04006 1C209D06
	v_pk_mul_f32 v[4:5], v[4:5], v[48:49]                      // 000000005E60: D3B14004 18026104
	v_pk_mul_f32 v[6:7], v[6:7], v[50:51]                      // 000000005E68: D3B14006 18026506
	v_pk_mul_f32 v[4:5], v[4:5], s[60:61]                      // 000000005E70: D3B14004 18007904
	v_pk_mul_f32 v[6:7], v[6:7], s[60:61]                      // 000000005E78: D3B14006 18007906
	v_exp_f32_e32 v4, v4                                       // 000000005E80: 7E084104
	v_exp_f32_e32 v5, v5                                       // 000000005E84: 7E0A4105
	v_exp_f32_e32 v6, v6                                       // 000000005E88: 7E0C4106
	v_exp_f32_e32 v7, v7                                       // 000000005E8C: 7E0E4107
	v_add_f32_e64 v4, v4, 1.0                                  // 000000005E90: D1010004 0001E504
	v_add_f32_e64 v5, v5, 1.0                                  // 000000005E98: D1010005 0001E505
	v_add_f32_e64 v6, v6, 1.0                                  // 000000005EA0: D1010006 0001E506
	v_add_f32_e64 v7, v7, 1.0                                  // 000000005EA8: D1010007 0001E507
	v_rcp_f32_e32 v4, v4                                       // 000000005EB0: 7E084504
	v_rcp_f32_e32 v5, v5                                       // 000000005EB4: 7E0A4505
	v_rcp_f32_e32 v6, v6                                       // 000000005EB8: 7E0C4506
	v_rcp_f32_e32 v7, v7                                       // 000000005EBC: 7E0E4507
	v_mul_f32_e32 v48, v48, v4                                 // 000000005EC0: 0A600930
	v_mul_f32_e32 v49, v49, v5                                 // 000000005EC4: 0A620B31
	v_mul_f32_e32 v50, v50, v6                                 // 000000005EC8: 0A640D32
	v_mul_f32_e32 v51, v51, v7                                 // 000000005ECC: 0A660F33
	v_mul_f32_e32 v48, v48, v72                                // 000000005ED0: 0A609130
	v_mul_f32_e32 v49, v49, v73                                // 000000005ED4: 0A629331
	v_mul_f32_e32 v50, v50, v74                                // 000000005ED8: 0A649532
	v_mul_f32_e32 v51, v51, v75                                // 000000005EDC: 0A669733
	v_pk_mul_f32 v[4:5], v[52:53], v[52:53]                    // 000000005EE0: D3B14004 18026934
	v_pk_mul_f32 v[6:7], v[54:55], v[54:55]                    // 000000005EE8: D3B14006 18026D36
	v_pk_fma_f32 v[4:5], v[4:5], s[78:79], v[8:9]              // 000000005EF0: D3B04004 1C209D04
	v_pk_fma_f32 v[6:7], v[6:7], s[78:79], v[8:9]              // 000000005EF8: D3B04006 1C209D06
	v_pk_mul_f32 v[4:5], v[4:5], v[52:53]                      // 000000005F00: D3B14004 18026904
	v_pk_mul_f32 v[6:7], v[6:7], v[54:55]                      // 000000005F08: D3B14006 18026D06
	v_pk_mul_f32 v[4:5], v[4:5], s[60:61]                      // 000000005F10: D3B14004 18007904
	v_pk_mul_f32 v[6:7], v[6:7], s[60:61]                      // 000000005F18: D3B14006 18007906
	v_exp_f32_e32 v4, v4                                       // 000000005F20: 7E084104
	v_exp_f32_e32 v5, v5                                       // 000000005F24: 7E0A4105
	v_exp_f32_e32 v6, v6                                       // 000000005F28: 7E0C4106
	v_exp_f32_e32 v7, v7                                       // 000000005F2C: 7E0E4107
	v_add_f32_e64 v4, v4, 1.0                                  // 000000005F30: D1010004 0001E504
	v_add_f32_e64 v5, v5, 1.0                                  // 000000005F38: D1010005 0001E505
	v_add_f32_e64 v6, v6, 1.0                                  // 000000005F40: D1010006 0001E506
	v_add_f32_e64 v7, v7, 1.0                                  // 000000005F48: D1010007 0001E507
	v_rcp_f32_e32 v4, v4                                       // 000000005F50: 7E084504
	v_rcp_f32_e32 v5, v5                                       // 000000005F54: 7E0A4505
	v_rcp_f32_e32 v6, v6                                       // 000000005F58: 7E0C4506
	v_rcp_f32_e32 v7, v7                                       // 000000005F5C: 7E0E4507
	v_mul_f32_e32 v52, v52, v4                                 // 000000005F60: 0A680934
	v_mul_f32_e32 v53, v53, v5                                 // 000000005F64: 0A6A0B35
	v_mul_f32_e32 v54, v54, v6                                 // 000000005F68: 0A6C0D36
	v_mul_f32_e32 v55, v55, v7                                 // 000000005F6C: 0A6E0F37
	v_mul_f32_e32 v52, v52, v76                                // 000000005F70: 0A689934
	v_mul_f32_e32 v53, v53, v77                                // 000000005F74: 0A6A9B35
	v_mul_f32_e32 v54, v54, v78                                // 000000005F78: 0A6C9D36
	v_mul_f32_e32 v55, v55, v79                                // 000000005F7C: 0A6E9F37
	v_pk_mul_f32 v[4:5], v[56:57], v[56:57]                    // 000000005F80: D3B14004 18027138
	v_pk_mul_f32 v[6:7], v[58:59], v[58:59]                    // 000000005F88: D3B14006 1802753A
	v_pk_fma_f32 v[4:5], v[4:5], s[78:79], v[8:9]              // 000000005F90: D3B04004 1C209D04
	v_pk_fma_f32 v[6:7], v[6:7], s[78:79], v[8:9]              // 000000005F98: D3B04006 1C209D06
	v_pk_mul_f32 v[4:5], v[4:5], v[56:57]                      // 000000005FA0: D3B14004 18027104
	v_pk_mul_f32 v[6:7], v[6:7], v[58:59]                      // 000000005FA8: D3B14006 18027506
	v_pk_mul_f32 v[4:5], v[4:5], s[60:61]                      // 000000005FB0: D3B14004 18007904
	v_pk_mul_f32 v[6:7], v[6:7], s[60:61]                      // 000000005FB8: D3B14006 18007906
	v_exp_f32_e32 v4, v4                                       // 000000005FC0: 7E084104
	v_exp_f32_e32 v5, v5                                       // 000000005FC4: 7E0A4105
	v_exp_f32_e32 v6, v6                                       // 000000005FC8: 7E0C4106
	v_exp_f32_e32 v7, v7                                       // 000000005FCC: 7E0E4107
	v_add_f32_e64 v4, v4, 1.0                                  // 000000005FD0: D1010004 0001E504
	v_add_f32_e64 v5, v5, 1.0                                  // 000000005FD8: D1010005 0001E505
	v_add_f32_e64 v6, v6, 1.0                                  // 000000005FE0: D1010006 0001E506
	v_add_f32_e64 v7, v7, 1.0                                  // 000000005FE8: D1010007 0001E507
	v_rcp_f32_e32 v4, v4                                       // 000000005FF0: 7E084504
	v_rcp_f32_e32 v5, v5                                       // 000000005FF4: 7E0A4505
	v_rcp_f32_e32 v6, v6                                       // 000000005FF8: 7E0C4506
	v_rcp_f32_e32 v7, v7                                       // 000000005FFC: 7E0E4507
	v_mul_f32_e32 v56, v56, v4                                 // 000000006000: 0A700938
	v_mul_f32_e32 v57, v57, v5                                 // 000000006004: 0A720B39
	v_mul_f32_e32 v58, v58, v6                                 // 000000006008: 0A740D3A
	v_mul_f32_e32 v59, v59, v7                                 // 00000000600C: 0A760F3B
	v_mul_f32_e32 v56, v56, v80                                // 000000006010: 0A70A138
	v_mul_f32_e32 v57, v57, v81                                // 000000006014: 0A72A339
	v_mul_f32_e32 v58, v58, v82                                // 000000006018: 0A74A53A
	v_mul_f32_e32 v59, v59, v83                                // 00000000601C: 0A76A73B
	v_pk_mul_f32 v[4:5], v[60:61], v[60:61]                    // 000000006020: D3B14004 1802793C
	v_pk_mul_f32 v[6:7], v[62:63], v[62:63]                    // 000000006028: D3B14006 18027D3E
	v_pk_fma_f32 v[4:5], v[4:5], s[78:79], v[8:9]              // 000000006030: D3B04004 1C209D04
	v_pk_fma_f32 v[6:7], v[6:7], s[78:79], v[8:9]              // 000000006038: D3B04006 1C209D06
	v_pk_mul_f32 v[4:5], v[4:5], v[60:61]                      // 000000006040: D3B14004 18027904
	v_pk_mul_f32 v[6:7], v[6:7], v[62:63]                      // 000000006048: D3B14006 18027D06
	v_pk_mul_f32 v[4:5], v[4:5], s[60:61]                      // 000000006050: D3B14004 18007904
	v_pk_mul_f32 v[6:7], v[6:7], s[60:61]                      // 000000006058: D3B14006 18007906
	v_exp_f32_e32 v4, v4                                       // 000000006060: 7E084104
	v_exp_f32_e32 v5, v5                                       // 000000006064: 7E0A4105
	v_exp_f32_e32 v6, v6                                       // 000000006068: 7E0C4106
	v_exp_f32_e32 v7, v7                                       // 00000000606C: 7E0E4107
	v_add_f32_e64 v4, v4, 1.0                                  // 000000006070: D1010004 0001E504
	v_add_f32_e64 v5, v5, 1.0                                  // 000000006078: D1010005 0001E505
	v_add_f32_e64 v6, v6, 1.0                                  // 000000006080: D1010006 0001E506
	v_add_f32_e64 v7, v7, 1.0                                  // 000000006088: D1010007 0001E507
	v_rcp_f32_e32 v4, v4                                       // 000000006090: 7E084504
	v_rcp_f32_e32 v5, v5                                       // 000000006094: 7E0A4505
	v_rcp_f32_e32 v6, v6                                       // 000000006098: 7E0C4506
	v_rcp_f32_e32 v7, v7                                       // 00000000609C: 7E0E4507
	v_mul_f32_e32 v60, v60, v4                                 // 0000000060A0: 0A78093C
	v_mul_f32_e32 v61, v61, v5                                 // 0000000060A4: 0A7A0B3D
	v_mul_f32_e32 v62, v62, v6                                 // 0000000060A8: 0A7C0D3E
	v_mul_f32_e32 v63, v63, v7                                 // 0000000060AC: 0A7E0F3F
	v_mul_f32_e32 v60, v60, v84                                // 0000000060B0: 0A78A93C
	v_mul_f32_e32 v61, v61, v85                                // 0000000060B4: 0A7AAB3D
	v_mul_f32_e32 v62, v62, v86                                // 0000000060B8: 0A7CAD3E
	v_mul_f32_e32 v63, v63, v87                                // 0000000060BC: 0A7EAF3F
	v_pk_mul_f32 v[4:5], v[64:65], v[64:65]                    // 0000000060C0: D3B14004 18028140
	v_pk_mul_f32 v[6:7], v[66:67], v[66:67]                    // 0000000060C8: D3B14006 18028542
	v_pk_fma_f32 v[4:5], v[4:5], s[78:79], v[8:9]              // 0000000060D0: D3B04004 1C209D04
	v_pk_fma_f32 v[6:7], v[6:7], s[78:79], v[8:9]              // 0000000060D8: D3B04006 1C209D06
	v_pk_mul_f32 v[4:5], v[4:5], v[64:65]                      // 0000000060E0: D3B14004 18028104
	v_pk_mul_f32 v[6:7], v[6:7], v[66:67]                      // 0000000060E8: D3B14006 18028506
	v_pk_mul_f32 v[4:5], v[4:5], s[60:61]                      // 0000000060F0: D3B14004 18007904
	v_pk_mul_f32 v[6:7], v[6:7], s[60:61]                      // 0000000060F8: D3B14006 18007906
	v_exp_f32_e32 v4, v4                                       // 000000006100: 7E084104
	v_exp_f32_e32 v5, v5                                       // 000000006104: 7E0A4105
	v_exp_f32_e32 v6, v6                                       // 000000006108: 7E0C4106
	v_exp_f32_e32 v7, v7                                       // 00000000610C: 7E0E4107
	v_add_f32_e64 v4, v4, 1.0                                  // 000000006110: D1010004 0001E504
	v_add_f32_e64 v5, v5, 1.0                                  // 000000006118: D1010005 0001E505
	v_add_f32_e64 v6, v6, 1.0                                  // 000000006120: D1010006 0001E506
	v_add_f32_e64 v7, v7, 1.0                                  // 000000006128: D1010007 0001E507
	v_rcp_f32_e32 v4, v4                                       // 000000006130: 7E084504
	v_rcp_f32_e32 v5, v5                                       // 000000006134: 7E0A4505
	v_rcp_f32_e32 v6, v6                                       // 000000006138: 7E0C4506
	v_rcp_f32_e32 v7, v7                                       // 00000000613C: 7E0E4507
	v_mul_f32_e32 v64, v64, v4                                 // 000000006140: 0A800940
	v_mul_f32_e32 v65, v65, v5                                 // 000000006144: 0A820B41
	v_mul_f32_e32 v66, v66, v6                                 // 000000006148: 0A840D42
	v_mul_f32_e32 v67, v67, v7                                 // 00000000614C: 0A860F43
	v_mul_f32_e32 v64, v64, v88                                // 000000006150: 0A80B140
	v_mul_f32_e32 v65, v65, v89                                // 000000006154: 0A82B341
	v_mul_f32_e32 v66, v66, v90                                // 000000006158: 0A84B542
	v_mul_f32_e32 v67, v67, v91                                // 00000000615C: 0A86B743
	v_pk_mul_f32 v[4:5], v[68:69], v[68:69]                    // 000000006160: D3B14004 18028944
	v_pk_mul_f32 v[6:7], v[70:71], v[70:71]                    // 000000006168: D3B14006 18028D46
	v_pk_fma_f32 v[4:5], v[4:5], s[78:79], v[8:9]              // 000000006170: D3B04004 1C209D04
	v_pk_fma_f32 v[6:7], v[6:7], s[78:79], v[8:9]              // 000000006178: D3B04006 1C209D06
	v_pk_mul_f32 v[4:5], v[4:5], v[68:69]                      // 000000006180: D3B14004 18028904
	v_pk_mul_f32 v[6:7], v[6:7], v[70:71]                      // 000000006188: D3B14006 18028D06
	v_pk_mul_f32 v[4:5], v[4:5], s[60:61]                      // 000000006190: D3B14004 18007904
	v_pk_mul_f32 v[6:7], v[6:7], s[60:61]                      // 000000006198: D3B14006 18007906
	v_exp_f32_e32 v4, v4                                       // 0000000061A0: 7E084104
	v_exp_f32_e32 v5, v5                                       // 0000000061A4: 7E0A4105
	v_exp_f32_e32 v6, v6                                       // 0000000061A8: 7E0C4106
	v_exp_f32_e32 v7, v7                                       // 0000000061AC: 7E0E4107
	v_add_f32_e64 v4, v4, 1.0                                  // 0000000061B0: D1010004 0001E504
	v_add_f32_e64 v5, v5, 1.0                                  // 0000000061B8: D1010005 0001E505
	v_add_f32_e64 v6, v6, 1.0                                  // 0000000061C0: D1010006 0001E506
	v_add_f32_e64 v7, v7, 1.0                                  // 0000000061C8: D1010007 0001E507
	v_rcp_f32_e32 v4, v4                                       // 0000000061D0: 7E084504
	v_rcp_f32_e32 v5, v5                                       // 0000000061D4: 7E0A4505
	v_rcp_f32_e32 v6, v6                                       // 0000000061D8: 7E0C4506
	v_rcp_f32_e32 v7, v7                                       // 0000000061DC: 7E0E4507
	v_mul_f32_e32 v68, v68, v4                                 // 0000000061E0: 0A880944
	v_mul_f32_e32 v69, v69, v5                                 // 0000000061E4: 0A8A0B45
	v_mul_f32_e32 v70, v70, v6                                 // 0000000061E8: 0A8C0D46
	v_mul_f32_e32 v71, v71, v7                                 // 0000000061EC: 0A8E0F47
	v_mul_f32_e32 v68, v68, v92                                // 0000000061F0: 0A88B944
	v_mul_f32_e32 v69, v69, v93                                // 0000000061F4: 0A8ABB45
	v_mul_f32_e32 v70, v70, v94                                // 0000000061F8: 0A8CBD46
	v_mul_f32_e32 v71, v71, v95                                // 0000000061FC: 0A8EBF47
	s_branch label_0EC4                                        // 000000006200: BF8200C0

0000000000006204 <label_0E04>:
	v_mul_f32_e64 v4, -v48, s6                                 // 000000006204: D1050004 20000D30
	v_mul_f32_e64 v5, -v49, s6                                 // 00000000620C: D1050005 20000D31
	v_mul_f32_e64 v6, -v50, s6                                 // 000000006214: D1050006 20000D32
	v_mul_f32_e64 v7, -v51, s6                                 // 00000000621C: D1050007 20000D33
	v_exp_f32_e32 v4, v4                                       // 000000006224: 7E084104
	v_exp_f32_e32 v5, v5                                       // 000000006228: 7E0A4105
	v_exp_f32_e32 v6, v6                                       // 00000000622C: 7E0C4106
	v_exp_f32_e32 v7, v7                                       // 000000006230: 7E0E4107
	v_add_f32_e64 v4, v4, 1.0                                  // 000000006234: D1010004 0001E504
	v_add_f32_e64 v5, v5, 1.0                                  // 00000000623C: D1010005 0001E505
	v_add_f32_e64 v6, v6, 1.0                                  // 000000006244: D1010006 0001E506
	v_add_f32_e64 v7, v7, 1.0                                  // 00000000624C: D1010007 0001E507
	v_rcp_f32_e32 v4, v4                                       // 000000006254: 7E084504
	v_rcp_f32_e32 v5, v5                                       // 000000006258: 7E0A4505
	v_rcp_f32_e32 v6, v6                                       // 00000000625C: 7E0C4506
	v_rcp_f32_e32 v7, v7                                       // 000000006260: 7E0E4507
	v_mul_f32_e32 v48, v48, v4                                 // 000000006264: 0A600930
	v_mul_f32_e32 v49, v49, v5                                 // 000000006268: 0A620B31
	v_mul_f32_e32 v50, v50, v6                                 // 00000000626C: 0A640D32
	v_mul_f32_e32 v51, v51, v7                                 // 000000006270: 0A660F33
	v_mul_f32_e32 v48, v48, v72                                // 000000006274: 0A609130
	v_mul_f32_e32 v49, v49, v73                                // 000000006278: 0A629331
	v_mul_f32_e32 v50, v50, v74                                // 00000000627C: 0A649532
	v_mul_f32_e32 v51, v51, v75                                // 000000006280: 0A669733
	v_mul_f32_e64 v4, -v52, s6                                 // 000000006284: D1050004 20000D34
	v_mul_f32_e64 v5, -v53, s6                                 // 00000000628C: D1050005 20000D35
	v_mul_f32_e64 v6, -v54, s6                                 // 000000006294: D1050006 20000D36
	v_mul_f32_e64 v7, -v55, s6                                 // 00000000629C: D1050007 20000D37
	v_exp_f32_e32 v4, v4                                       // 0000000062A4: 7E084104
	v_exp_f32_e32 v5, v5                                       // 0000000062A8: 7E0A4105
	v_exp_f32_e32 v6, v6                                       // 0000000062AC: 7E0C4106
	v_exp_f32_e32 v7, v7                                       // 0000000062B0: 7E0E4107
	v_add_f32_e64 v4, v4, 1.0                                  // 0000000062B4: D1010004 0001E504
	v_add_f32_e64 v5, v5, 1.0                                  // 0000000062BC: D1010005 0001E505
	v_add_f32_e64 v6, v6, 1.0                                  // 0000000062C4: D1010006 0001E506
	v_add_f32_e64 v7, v7, 1.0                                  // 0000000062CC: D1010007 0001E507
	v_rcp_f32_e32 v4, v4                                       // 0000000062D4: 7E084504
	v_rcp_f32_e32 v5, v5                                       // 0000000062D8: 7E0A4505
	v_rcp_f32_e32 v6, v6                                       // 0000000062DC: 7E0C4506
	v_rcp_f32_e32 v7, v7                                       // 0000000062E0: 7E0E4507
	v_mul_f32_e32 v52, v52, v4                                 // 0000000062E4: 0A680934
	v_mul_f32_e32 v53, v53, v5                                 // 0000000062E8: 0A6A0B35
	v_mul_f32_e32 v54, v54, v6                                 // 0000000062EC: 0A6C0D36
	v_mul_f32_e32 v55, v55, v7                                 // 0000000062F0: 0A6E0F37
	v_mul_f32_e32 v52, v52, v76                                // 0000000062F4: 0A689934
	v_mul_f32_e32 v53, v53, v77                                // 0000000062F8: 0A6A9B35
	v_mul_f32_e32 v54, v54, v78                                // 0000000062FC: 0A6C9D36
	v_mul_f32_e32 v55, v55, v79                                // 000000006300: 0A6E9F37
	v_mul_f32_e64 v4, -v56, s6                                 // 000000006304: D1050004 20000D38
	v_mul_f32_e64 v5, -v57, s6                                 // 00000000630C: D1050005 20000D39
	v_mul_f32_e64 v6, -v58, s6                                 // 000000006314: D1050006 20000D3A
	v_mul_f32_e64 v7, -v59, s6                                 // 00000000631C: D1050007 20000D3B
	v_exp_f32_e32 v4, v4                                       // 000000006324: 7E084104
	v_exp_f32_e32 v5, v5                                       // 000000006328: 7E0A4105
	v_exp_f32_e32 v6, v6                                       // 00000000632C: 7E0C4106
	v_exp_f32_e32 v7, v7                                       // 000000006330: 7E0E4107
	v_add_f32_e64 v4, v4, 1.0                                  // 000000006334: D1010004 0001E504
	v_add_f32_e64 v5, v5, 1.0                                  // 00000000633C: D1010005 0001E505
	v_add_f32_e64 v6, v6, 1.0                                  // 000000006344: D1010006 0001E506
	v_add_f32_e64 v7, v7, 1.0                                  // 00000000634C: D1010007 0001E507
	v_rcp_f32_e32 v4, v4                                       // 000000006354: 7E084504
	v_rcp_f32_e32 v5, v5                                       // 000000006358: 7E0A4505
	v_rcp_f32_e32 v6, v6                                       // 00000000635C: 7E0C4506
	v_rcp_f32_e32 v7, v7                                       // 000000006360: 7E0E4507
	v_mul_f32_e32 v56, v56, v4                                 // 000000006364: 0A700938
	v_mul_f32_e32 v57, v57, v5                                 // 000000006368: 0A720B39
	v_mul_f32_e32 v58, v58, v6                                 // 00000000636C: 0A740D3A
	v_mul_f32_e32 v59, v59, v7                                 // 000000006370: 0A760F3B
	v_mul_f32_e32 v56, v56, v80                                // 000000006374: 0A70A138
	v_mul_f32_e32 v57, v57, v81                                // 000000006378: 0A72A339
	v_mul_f32_e32 v58, v58, v82                                // 00000000637C: 0A74A53A
	v_mul_f32_e32 v59, v59, v83                                // 000000006380: 0A76A73B
	v_mul_f32_e64 v4, -v60, s6                                 // 000000006384: D1050004 20000D3C
	v_mul_f32_e64 v5, -v61, s6                                 // 00000000638C: D1050005 20000D3D
	v_mul_f32_e64 v6, -v62, s6                                 // 000000006394: D1050006 20000D3E
	v_mul_f32_e64 v7, -v63, s6                                 // 00000000639C: D1050007 20000D3F
	v_exp_f32_e32 v4, v4                                       // 0000000063A4: 7E084104
	v_exp_f32_e32 v5, v5                                       // 0000000063A8: 7E0A4105
	v_exp_f32_e32 v6, v6                                       // 0000000063AC: 7E0C4106
	v_exp_f32_e32 v7, v7                                       // 0000000063B0: 7E0E4107
	v_add_f32_e64 v4, v4, 1.0                                  // 0000000063B4: D1010004 0001E504
	v_add_f32_e64 v5, v5, 1.0                                  // 0000000063BC: D1010005 0001E505
	v_add_f32_e64 v6, v6, 1.0                                  // 0000000063C4: D1010006 0001E506
	v_add_f32_e64 v7, v7, 1.0                                  // 0000000063CC: D1010007 0001E507
	v_rcp_f32_e32 v4, v4                                       // 0000000063D4: 7E084504
	v_rcp_f32_e32 v5, v5                                       // 0000000063D8: 7E0A4505
	v_rcp_f32_e32 v6, v6                                       // 0000000063DC: 7E0C4506
	v_rcp_f32_e32 v7, v7                                       // 0000000063E0: 7E0E4507
	v_mul_f32_e32 v60, v60, v4                                 // 0000000063E4: 0A78093C
	v_mul_f32_e32 v61, v61, v5                                 // 0000000063E8: 0A7A0B3D
	v_mul_f32_e32 v62, v62, v6                                 // 0000000063EC: 0A7C0D3E
	v_mul_f32_e32 v63, v63, v7                                 // 0000000063F0: 0A7E0F3F
	v_mul_f32_e32 v60, v60, v84                                // 0000000063F4: 0A78A93C
	v_mul_f32_e32 v61, v61, v85                                // 0000000063F8: 0A7AAB3D
	v_mul_f32_e32 v62, v62, v86                                // 0000000063FC: 0A7CAD3E
	v_mul_f32_e32 v63, v63, v87                                // 000000006400: 0A7EAF3F
	v_mul_f32_e64 v4, -v64, s6                                 // 000000006404: D1050004 20000D40
	v_mul_f32_e64 v5, -v65, s6                                 // 00000000640C: D1050005 20000D41
	v_mul_f32_e64 v6, -v66, s6                                 // 000000006414: D1050006 20000D42
	v_mul_f32_e64 v7, -v67, s6                                 // 00000000641C: D1050007 20000D43
	v_exp_f32_e32 v4, v4                                       // 000000006424: 7E084104
	v_exp_f32_e32 v5, v5                                       // 000000006428: 7E0A4105
	v_exp_f32_e32 v6, v6                                       // 00000000642C: 7E0C4106
	v_exp_f32_e32 v7, v7                                       // 000000006430: 7E0E4107
	v_add_f32_e64 v4, v4, 1.0                                  // 000000006434: D1010004 0001E504
	v_add_f32_e64 v5, v5, 1.0                                  // 00000000643C: D1010005 0001E505
	v_add_f32_e64 v6, v6, 1.0                                  // 000000006444: D1010006 0001E506
	v_add_f32_e64 v7, v7, 1.0                                  // 00000000644C: D1010007 0001E507
	v_rcp_f32_e32 v4, v4                                       // 000000006454: 7E084504
	v_rcp_f32_e32 v5, v5                                       // 000000006458: 7E0A4505
	v_rcp_f32_e32 v6, v6                                       // 00000000645C: 7E0C4506
	v_rcp_f32_e32 v7, v7                                       // 000000006460: 7E0E4507
	v_mul_f32_e32 v64, v64, v4                                 // 000000006464: 0A800940
	v_mul_f32_e32 v65, v65, v5                                 // 000000006468: 0A820B41
	v_mul_f32_e32 v66, v66, v6                                 // 00000000646C: 0A840D42
	v_mul_f32_e32 v67, v67, v7                                 // 000000006470: 0A860F43
	v_mul_f32_e32 v64, v64, v88                                // 000000006474: 0A80B140
	v_mul_f32_e32 v65, v65, v89                                // 000000006478: 0A82B341
	v_mul_f32_e32 v66, v66, v90                                // 00000000647C: 0A84B542
	v_mul_f32_e32 v67, v67, v91                                // 000000006480: 0A86B743
	v_mul_f32_e64 v4, -v68, s6                                 // 000000006484: D1050004 20000D44
	v_mul_f32_e64 v5, -v69, s6                                 // 00000000648C: D1050005 20000D45
	v_mul_f32_e64 v6, -v70, s6                                 // 000000006494: D1050006 20000D46
	v_mul_f32_e64 v7, -v71, s6                                 // 00000000649C: D1050007 20000D47
	v_exp_f32_e32 v4, v4                                       // 0000000064A4: 7E084104
	v_exp_f32_e32 v5, v5                                       // 0000000064A8: 7E0A4105
	v_exp_f32_e32 v6, v6                                       // 0000000064AC: 7E0C4106
	v_exp_f32_e32 v7, v7                                       // 0000000064B0: 7E0E4107
	v_add_f32_e64 v4, v4, 1.0                                  // 0000000064B4: D1010004 0001E504
	v_add_f32_e64 v5, v5, 1.0                                  // 0000000064BC: D1010005 0001E505
	v_add_f32_e64 v6, v6, 1.0                                  // 0000000064C4: D1010006 0001E506
	v_add_f32_e64 v7, v7, 1.0                                  // 0000000064CC: D1010007 0001E507
	v_rcp_f32_e32 v4, v4                                       // 0000000064D4: 7E084504
	v_rcp_f32_e32 v5, v5                                       // 0000000064D8: 7E0A4505
	v_rcp_f32_e32 v6, v6                                       // 0000000064DC: 7E0C4506
	v_rcp_f32_e32 v7, v7                                       // 0000000064E0: 7E0E4507
	v_mul_f32_e32 v68, v68, v4                                 // 0000000064E4: 0A880944
	v_mul_f32_e32 v69, v69, v5                                 // 0000000064E8: 0A8A0B45
	v_mul_f32_e32 v70, v70, v6                                 // 0000000064EC: 0A8C0D46
	v_mul_f32_e32 v71, v71, v7                                 // 0000000064F0: 0A8E0F47
	v_mul_f32_e32 v68, v68, v92                                // 0000000064F4: 0A88B944
	v_mul_f32_e32 v69, v69, v93                                // 0000000064F8: 0A8ABB45
	v_mul_f32_e32 v70, v70, v94                                // 0000000064FC: 0A8CBD46
	v_mul_f32_e32 v71, v71, v95                                // 000000006500: 0A8EBF47

0000000000006504 <label_0EC4>:
	v_cmp_u_f32_e64 s[46:47], v48, v48                         // 000000006504: D048002E 00026130
	v_add3_u32 v16, v48, v19, 1                                // 00000000650C: D1FF0010 02062730
	v_cndmask_b32_e64 v4, v16, v18, s[46:47]                   // 000000006514: D1000004 00BA2510
	v_cmp_u_f32_e64 s[46:47], v49, v49                         // 00000000651C: D048002E 00026331
	v_add3_u32 v16, v49, v19, 1                                // 000000006524: D1FF0010 02062731
	v_cndmask_b32_e64 v5, v16, v18, s[46:47]                   // 00000000652C: D1000005 00BA2510
	v_perm_b32 v48, v5, v4, s52                                // 000000006534: D1ED0030 00D20905
	v_cmp_u_f32_e64 s[46:47], v50, v50                         // 00000000653C: D048002E 00026532
	v_add3_u32 v16, v50, v19, 1                                // 000000006544: D1FF0010 02062732
	v_cndmask_b32_e64 v4, v16, v18, s[46:47]                   // 00000000654C: D1000004 00BA2510
	v_cmp_u_f32_e64 s[46:47], v51, v51                         // 000000006554: D048002E 00026733
	v_add3_u32 v16, v51, v19, 1                                // 00000000655C: D1FF0010 02062733
	v_cndmask_b32_e64 v5, v16, v18, s[46:47]                   // 000000006564: D1000005 00BA2510
	v_perm_b32 v49, v5, v4, s52                                // 00000000656C: D1ED0031 00D20905
	v_cmp_u_f32_e64 s[46:47], v52, v52                         // 000000006574: D048002E 00026934
	v_add3_u32 v16, v52, v19, 1                                // 00000000657C: D1FF0010 02062734
	v_cndmask_b32_e64 v4, v16, v18, s[46:47]                   // 000000006584: D1000004 00BA2510
	v_cmp_u_f32_e64 s[46:47], v53, v53                         // 00000000658C: D048002E 00026B35
	v_add3_u32 v16, v53, v19, 1                                // 000000006594: D1FF0010 02062735
	v_cndmask_b32_e64 v5, v16, v18, s[46:47]                   // 00000000659C: D1000005 00BA2510
	v_perm_b32 v50, v5, v4, s52                                // 0000000065A4: D1ED0032 00D20905
	v_cmp_u_f32_e64 s[46:47], v54, v54                         // 0000000065AC: D048002E 00026D36
	v_add3_u32 v16, v54, v19, 1                                // 0000000065B4: D1FF0010 02062736
	v_cndmask_b32_e64 v4, v16, v18, s[46:47]                   // 0000000065BC: D1000004 00BA2510
	v_cmp_u_f32_e64 s[46:47], v55, v55                         // 0000000065C4: D048002E 00026F37
	v_add3_u32 v16, v55, v19, 1                                // 0000000065CC: D1FF0010 02062737
	v_cndmask_b32_e64 v5, v16, v18, s[46:47]                   // 0000000065D4: D1000005 00BA2510
	v_perm_b32 v51, v5, v4, s52                                // 0000000065DC: D1ED0033 00D20905
	v_cmp_u_f32_e64 s[46:47], v56, v56                         // 0000000065E4: D048002E 00027138
	v_add3_u32 v16, v56, v19, 1                                // 0000000065EC: D1FF0010 02062738
	v_cndmask_b32_e64 v4, v16, v18, s[46:47]                   // 0000000065F4: D1000004 00BA2510
	v_cmp_u_f32_e64 s[46:47], v57, v57                         // 0000000065FC: D048002E 00027339
	v_add3_u32 v16, v57, v19, 1                                // 000000006604: D1FF0010 02062739
	v_cndmask_b32_e64 v5, v16, v18, s[46:47]                   // 00000000660C: D1000005 00BA2510
	v_perm_b32 v52, v5, v4, s52                                // 000000006614: D1ED0034 00D20905
	v_cmp_u_f32_e64 s[46:47], v58, v58                         // 00000000661C: D048002E 0002753A
	v_add3_u32 v16, v58, v19, 1                                // 000000006624: D1FF0010 0206273A
	v_cndmask_b32_e64 v4, v16, v18, s[46:47]                   // 00000000662C: D1000004 00BA2510
	v_cmp_u_f32_e64 s[46:47], v59, v59                         // 000000006634: D048002E 0002773B
	v_add3_u32 v16, v59, v19, 1                                // 00000000663C: D1FF0010 0206273B
	v_cndmask_b32_e64 v5, v16, v18, s[46:47]                   // 000000006644: D1000005 00BA2510
	v_perm_b32 v53, v5, v4, s52                                // 00000000664C: D1ED0035 00D20905
	v_cmp_u_f32_e64 s[46:47], v60, v60                         // 000000006654: D048002E 0002793C
	v_add3_u32 v16, v60, v19, 1                                // 00000000665C: D1FF0010 0206273C
	v_cndmask_b32_e64 v4, v16, v18, s[46:47]                   // 000000006664: D1000004 00BA2510
	v_cmp_u_f32_e64 s[46:47], v61, v61                         // 00000000666C: D048002E 00027B3D
	v_add3_u32 v16, v61, v19, 1                                // 000000006674: D1FF0010 0206273D
	v_cndmask_b32_e64 v5, v16, v18, s[46:47]                   // 00000000667C: D1000005 00BA2510
	v_perm_b32 v54, v5, v4, s52                                // 000000006684: D1ED0036 00D20905
	v_cmp_u_f32_e64 s[46:47], v62, v62                         // 00000000668C: D048002E 00027D3E
	v_add3_u32 v16, v62, v19, 1                                // 000000006694: D1FF0010 0206273E
	v_cndmask_b32_e64 v4, v16, v18, s[46:47]                   // 00000000669C: D1000004 00BA2510
	v_cmp_u_f32_e64 s[46:47], v63, v63                         // 0000000066A4: D048002E 00027F3F
	v_add3_u32 v16, v63, v19, 1                                // 0000000066AC: D1FF0010 0206273F
	v_cndmask_b32_e64 v5, v16, v18, s[46:47]                   // 0000000066B4: D1000005 00BA2510
	v_perm_b32 v55, v5, v4, s52                                // 0000000066BC: D1ED0037 00D20905
	v_cmp_u_f32_e64 s[46:47], v64, v64                         // 0000000066C4: D048002E 00028140
	v_add3_u32 v16, v64, v19, 1                                // 0000000066CC: D1FF0010 02062740
	v_cndmask_b32_e64 v4, v16, v18, s[46:47]                   // 0000000066D4: D1000004 00BA2510
	v_cmp_u_f32_e64 s[46:47], v65, v65                         // 0000000066DC: D048002E 00028341
	v_add3_u32 v16, v65, v19, 1                                // 0000000066E4: D1FF0010 02062741
	v_cndmask_b32_e64 v5, v16, v18, s[46:47]                   // 0000000066EC: D1000005 00BA2510
	v_perm_b32 v56, v5, v4, s52                                // 0000000066F4: D1ED0038 00D20905
	v_cmp_u_f32_e64 s[46:47], v66, v66                         // 0000000066FC: D048002E 00028542
	v_add3_u32 v16, v66, v19, 1                                // 000000006704: D1FF0010 02062742
	v_cndmask_b32_e64 v4, v16, v18, s[46:47]                   // 00000000670C: D1000004 00BA2510
	v_cmp_u_f32_e64 s[46:47], v67, v67                         // 000000006714: D048002E 00028743
	v_add3_u32 v16, v67, v19, 1                                // 00000000671C: D1FF0010 02062743
	v_cndmask_b32_e64 v5, v16, v18, s[46:47]                   // 000000006724: D1000005 00BA2510
	v_perm_b32 v57, v5, v4, s52                                // 00000000672C: D1ED0039 00D20905
	v_cmp_u_f32_e64 s[46:47], v68, v68                         // 000000006734: D048002E 00028944
	v_add3_u32 v16, v68, v19, 1                                // 00000000673C: D1FF0010 02062744
	v_cndmask_b32_e64 v4, v16, v18, s[46:47]                   // 000000006744: D1000004 00BA2510
	v_cmp_u_f32_e64 s[46:47], v69, v69                         // 00000000674C: D048002E 00028B45
	v_add3_u32 v16, v69, v19, 1                                // 000000006754: D1FF0010 02062745
	v_cndmask_b32_e64 v5, v16, v18, s[46:47]                   // 00000000675C: D1000005 00BA2510
	v_perm_b32 v58, v5, v4, s52                                // 000000006764: D1ED003A 00D20905
	v_cmp_u_f32_e64 s[46:47], v70, v70                         // 00000000676C: D048002E 00028D46
	v_add3_u32 v16, v70, v19, 1                                // 000000006774: D1FF0010 02062746
	v_cndmask_b32_e64 v4, v16, v18, s[46:47]                   // 00000000677C: D1000004 00BA2510
	v_cmp_u_f32_e64 s[46:47], v71, v71                         // 000000006784: D048002E 00028F47
	v_add3_u32 v16, v71, v19, 1                                // 00000000678C: D1FF0010 02062747
	v_cndmask_b32_e64 v5, v16, v18, s[46:47]                   // 000000006794: D1000005 00BA2510
	v_perm_b32 v59, v5, v4, s52                                // 00000000679C: D1ED003B 00D20905
	ds_write_b64 v20, v[48:49]                                 // 0000000067A4: D89A0000 00003014
	ds_write_b64 v20, v[50:51] offset:4352                     // 0000000067AC: D89A1100 00003214
	ds_write_b64 v20, v[52:53] offset:8704                     // 0000000067B4: D89A2200 00003414
	ds_write_b64 v20, v[54:55] offset:2176                     // 0000000067BC: D89A0880 00003614
	ds_write_b64 v20, v[56:57] offset:6528                     // 0000000067C4: D89A1980 00003814
	ds_write_b64 v20, v[58:59] offset:10880                    // 0000000067CC: D89A2A80 00003A14
	v_lshrrev_b32_e32 v4, 5, v0                                // 0000000067D4: 20080085
	v_xor_b32_e32 v5, 1, v4                                    // 0000000067D8: 2A0A0881
	s_mul_i32 s60, s65, 2                                      // 0000000067DC: 923C8241
	s_cmp_eq_u32 s88, 0                                        // 0000000067E0: BF068058
	s_cselect_b32 s61, 1, 4                                    // 0000000067E4: 853D8481
	s_mul_i32 s60, s61, s60                                    // 0000000067E8: 923C3C3D
	v_readlane_b32 s82, v3, 0                                  // 0000000067EC: D2890052 00010103
	s_lshr_b32 s61, s82, 24                                    // 0000000067F4: 8F3D9852
	s_and_b32 s82, s82, 0xffffff                               // 0000000067F8: 8652FF52 00FFFFFF
	s_mul_i32 s82, s82, s71                                    // 000000006800: 92524752
	s_mul_i32 s61, s60, s61                                    // 000000006804: 923D3D3C
	s_add_u32 s82, s82, s61                                    // 000000006808: 80523D52
	v_mul_lo_u32 v6, v5, s82                                   // 00000000680C: D2850006 0000A505
	v_readlane_b32 s82, v3, 1                                  // 000000006814: D2890052 00010303
	s_lshr_b32 s61, s82, 24                                    // 00000000681C: 8F3D9852
	s_and_b32 s82, s82, 0xffffff                               // 000000006820: 8652FF52 00FFFFFF
	s_mul_i32 s82, s82, s71                                    // 000000006828: 92524752
	s_mul_i32 s61, s60, s61                                    // 00000000682C: 923D3D3C
	s_add_u32 s82, s82, s61                                    // 000000006830: 80523D52
	v_mul_lo_u32 v7, v4, s82                                   // 000000006834: D2850007 0000A504
	v_add_u32_e32 v40, v6, v7                                  // 00000000683C: 68500F06
	v_readlane_b32 s82, v3, 2                                  // 000000006840: D2890052 00010503
	s_lshr_b32 s61, s82, 24                                    // 000000006848: 8F3D9852
	s_and_b32 s82, s82, 0xffffff                               // 00000000684C: 8652FF52 00FFFFFF
	s_mul_i32 s82, s82, s71                                    // 000000006854: 92524752
	s_mul_i32 s61, s60, s61                                    // 000000006858: 923D3D3C
	s_add_u32 s82, s82, s61                                    // 00000000685C: 80523D52
	v_mul_lo_u32 v6, v5, s82                                   // 000000006860: D2850006 0000A505
	v_readlane_b32 s82, v3, 3                                  // 000000006868: D2890052 00010703
	s_lshr_b32 s61, s82, 24                                    // 000000006870: 8F3D9852
	s_and_b32 s82, s82, 0xffffff                               // 000000006874: 8652FF52 00FFFFFF
	s_mul_i32 s82, s82, s71                                    // 00000000687C: 92524752
	s_mul_i32 s61, s60, s61                                    // 000000006880: 923D3D3C
	s_add_u32 s82, s82, s61                                    // 000000006884: 80523D52
	v_mul_lo_u32 v7, v4, s82                                   // 000000006888: D2850007 0000A504
	v_add_u32_e32 v41, v6, v7                                  // 000000006890: 68520F06
	v_readlane_b32 s82, v3, 4                                  // 000000006894: D2890052 00010903
	s_lshr_b32 s61, s82, 24                                    // 00000000689C: 8F3D9852
	s_and_b32 s82, s82, 0xffffff                               // 0000000068A0: 8652FF52 00FFFFFF
	s_mul_i32 s82, s82, s71                                    // 0000000068A8: 92524752
	s_mul_i32 s61, s60, s61                                    // 0000000068AC: 923D3D3C
	s_add_u32 s82, s82, s61                                    // 0000000068B0: 80523D52
	v_mul_lo_u32 v6, v5, s82                                   // 0000000068B4: D2850006 0000A505
	v_readlane_b32 s82, v3, 5                                  // 0000000068BC: D2890052 00010B03
	s_lshr_b32 s61, s82, 24                                    // 0000000068C4: 8F3D9852
	s_and_b32 s82, s82, 0xffffff                               // 0000000068C8: 8652FF52 00FFFFFF
	s_mul_i32 s82, s82, s71                                    // 0000000068D0: 92524752
	s_mul_i32 s61, s60, s61                                    // 0000000068D4: 923D3D3C
	s_add_u32 s82, s82, s61                                    // 0000000068D8: 80523D52
	v_mul_lo_u32 v7, v4, s82                                   // 0000000068DC: D2850007 0000A504
	v_add_u32_e32 v42, v6, v7                                  // 0000000068E4: 68540F06
	v_readlane_b32 s82, v3, 6                                  // 0000000068E8: D2890052 00010D03
	s_lshr_b32 s61, s82, 24                                    // 0000000068F0: 8F3D9852
	s_and_b32 s82, s82, 0xffffff                               // 0000000068F4: 8652FF52 00FFFFFF
	s_mul_i32 s82, s82, s71                                    // 0000000068FC: 92524752
	s_mul_i32 s61, s60, s61                                    // 000000006900: 923D3D3C
	s_add_u32 s82, s82, s61                                    // 000000006904: 80523D52
	v_mul_lo_u32 v6, v5, s82                                   // 000000006908: D2850006 0000A505
	v_readlane_b32 s82, v3, 7                                  // 000000006910: D2890052 00010F03
	s_lshr_b32 s61, s82, 24                                    // 000000006918: 8F3D9852
	s_and_b32 s82, s82, 0xffffff                               // 00000000691C: 8652FF52 00FFFFFF
	s_mul_i32 s82, s82, s71                                    // 000000006924: 92524752
	s_mul_i32 s61, s60, s61                                    // 000000006928: 923D3D3C
	s_add_u32 s82, s82, s61                                    // 00000000692C: 80523D52
	v_mul_lo_u32 v7, v4, s82                                   // 000000006930: D2850007 0000A504
	v_add_u32_e32 v43, v6, v7                                  // 000000006938: 68560F06
	v_readlane_b32 s82, v3, 8                                  // 00000000693C: D2890052 00011103
	s_lshr_b32 s61, s82, 24                                    // 000000006944: 8F3D9852
	s_and_b32 s82, s82, 0xffffff                               // 000000006948: 8652FF52 00FFFFFF
	s_mul_i32 s82, s82, s71                                    // 000000006950: 92524752
	s_mul_i32 s61, s60, s61                                    // 000000006954: 923D3D3C
	s_add_u32 s82, s82, s61                                    // 000000006958: 80523D52
	v_mul_lo_u32 v6, v5, s82                                   // 00000000695C: D2850006 0000A505
	v_readlane_b32 s82, v3, 9                                  // 000000006964: D2890052 00011303
	s_lshr_b32 s61, s82, 24                                    // 00000000696C: 8F3D9852
	s_and_b32 s82, s82, 0xffffff                               // 000000006970: 8652FF52 00FFFFFF
	s_mul_i32 s82, s82, s71                                    // 000000006978: 92524752
	s_mul_i32 s61, s60, s61                                    // 00000000697C: 923D3D3C
	s_add_u32 s82, s82, s61                                    // 000000006980: 80523D52
	v_mul_lo_u32 v7, v4, s82                                   // 000000006984: D2850007 0000A504
	v_add_u32_e32 v44, v6, v7                                  // 00000000698C: 68580F06
	v_readlane_b32 s82, v3, 10                                 // 000000006990: D2890052 00011503
	s_lshr_b32 s61, s82, 24                                    // 000000006998: 8F3D9852
	s_and_b32 s82, s82, 0xffffff                               // 00000000699C: 8652FF52 00FFFFFF
	s_mul_i32 s82, s82, s71                                    // 0000000069A4: 92524752
	s_mul_i32 s61, s60, s61                                    // 0000000069A8: 923D3D3C
	s_add_u32 s82, s82, s61                                    // 0000000069AC: 80523D52
	v_mul_lo_u32 v6, v5, s82                                   // 0000000069B0: D2850006 0000A505
	v_readlane_b32 s82, v3, 11                                 // 0000000069B8: D2890052 00011703
	s_lshr_b32 s61, s82, 24                                    // 0000000069C0: 8F3D9852
	s_and_b32 s82, s82, 0xffffff                               // 0000000069C4: 8652FF52 00FFFFFF
	s_mul_i32 s82, s82, s71                                    // 0000000069CC: 92524752
	s_mul_i32 s61, s60, s61                                    // 0000000069D0: 923D3D3C
	s_add_u32 s82, s82, s61                                    // 0000000069D4: 80523D52
	v_mul_lo_u32 v7, v4, s82                                   // 0000000069D8: D2850007 0000A504
	v_add_u32_e32 v45, v6, v7                                  // 0000000069E0: 685A0F06
	v_and_b32_e32 v4, 31, v0                                   // 0000000069E4: 2608009F
	v_lshrrev_b32_e32 v4, 1, v4                                // 0000000069E8: 20080881
	s_cmp_eq_u32 s88, 0                                        // 0000000069EC: BF068058
	s_cselect_b32 s61, 2, 4                                    // 0000000069F0: 853D8482
	v_mul_lo_u32 v4, v4, s61                                   // 0000000069F4: D2850004 00007B04
	v_and_b32_e64 v5, v0, 1                                    // 0000000069FC: D1130005 00010300
	v_add_u32_e32 v4, v4, v5                                   // 000000006A04: 68080B04
	v_lshlrev_b32_e32 v4, 2, v4                                // 000000006A08: 24080882
	v_add_u32_e32 v40, v40, v4                                 // 000000006A0C: 68500928
	v_add_u32_e32 v41, v41, v4                                 // 000000006A10: 68520929
	v_add_u32_e32 v42, v42, v4                                 // 000000006A14: 6854092A
	v_add_u32_e32 v43, v43, v4                                 // 000000006A18: 6856092B
	v_add_u32_e32 v44, v44, v4                                 // 000000006A1C: 6858092C
	v_add_u32_e32 v45, v45, v4                                 // 000000006A20: 685A092D
	s_waitcnt lgkmcnt(0)                                       // 000000006A24: BF8CC07F
	s_barrier                                                  // 000000006A28: BF8A0000
	ds_read_b32 v48, v21                                       // 000000006A2C: D86C0000 30000015
	ds_read_b32 v49, v21 offset:64                             // 000000006A34: D86C0040 31000015
	ds_read_b32 v50, v21 offset:2176                           // 000000006A3C: D86C0880 32000015
	ds_read_b32 v51, v21 offset:2240                           // 000000006A44: D86C08C0 33000015
	ds_read_b32 v52, v21 offset:4352                           // 000000006A4C: D86C1100 34000015
	ds_read_b32 v53, v21 offset:4416                           // 000000006A54: D86C1140 35000015
	ds_read_b32 v54, v21 offset:6528                           // 000000006A5C: D86C1980 36000015
	ds_read_b32 v55, v21 offset:6592                           // 000000006A64: D86C19C0 37000015
	ds_read_b32 v56, v21 offset:8704                           // 000000006A6C: D86C2200 38000015
	ds_read_b32 v57, v21 offset:8768                           // 000000006A74: D86C2240 39000015
	ds_read_b32 v58, v21 offset:10880                          // 000000006A7C: D86C2A80 3A000015
	ds_read_b32 v59, v21 offset:10944                          // 000000006A84: D86C2AC0 3B000015
	s_waitcnt lgkmcnt(0)                                       // 000000006A8C: BF8CC07F
	s_mov_b32 s36, -1                                          // 000000006A90: BEA400C1
	s_mov_b32 s37, -1                                          // 000000006A94: BEA500C1
	v_mov_b32_e32 v7, 0                                        // 000000006A98: 7E0E0280
	s_or_b32 s9, s9, 0x40000                                   // 000000006A9C: 8709FF09 00040000
	s_mov_b64 exec, s[36:37]                                   // 000000006AA4: BEFE0124
	v_mov_b32_e32 v6, v40                                      // 000000006AA8: 7E0C0328
	s_mov_b64 s[60:61], 0                                      // 000000006AAC: BEBC0180
	v_readlane_b32 s82, v3, 0                                  // 000000006AB0: D2890052 00010103
	s_and_b32 s82, s82, 0xffffff                               // 000000006AB8: 8652FF52 00FFFFFF
	s_cmp_lt_u32 s82, s66                                      // 000000006AC0: BF0A4252
	s_cselect_b32 s20, s36, s60                                // 000000006AC4: 85143C24
	v_readlane_b32 s82, v3, 1                                  // 000000006AC8: D2890052 00010303
	s_and_b32 s82, s82, 0xffffff                               // 000000006AD0: 8652FF52 00FFFFFF
	s_cmp_lt_u32 s82, s66                                      // 000000006AD8: BF0A4252
	s_cselect_b32 s21, s36, s60                                // 000000006ADC: 85153C24
	s_mov_b64 exec, s[20:21]                                   // 000000006AE0: BEFE0114
	buffer_store_dword v48, v6, s[8:11], 0 offen               // 000000006AE4: E0701000 80023006
	buffer_store_dword v50, v6, s[8:11], 0 offen offset:128    // 000000006AEC: E0701080 80023206
	s_mov_b64 exec, s[36:37]                                   // 000000006AF4: BEFE0124
	v_mov_b32_e32 v6, v41                                      // 000000006AF8: 7E0C0329
	s_mov_b64 s[60:61], 0                                      // 000000006AFC: BEBC0180
	v_readlane_b32 s82, v3, 2                                  // 000000006B00: D2890052 00010503
	s_and_b32 s82, s82, 0xffffff                               // 000000006B08: 8652FF52 00FFFFFF
	s_cmp_lt_u32 s82, s66                                      // 000000006B10: BF0A4252
	s_cselect_b32 s20, s36, s60                                // 000000006B14: 85143C24
	v_readlane_b32 s82, v3, 3                                  // 000000006B18: D2890052 00010703
	s_and_b32 s82, s82, 0xffffff                               // 000000006B20: 8652FF52 00FFFFFF
	s_cmp_lt_u32 s82, s66                                      // 000000006B28: BF0A4252
	s_cselect_b32 s21, s36, s60                                // 000000006B2C: 85153C24
	s_mov_b64 exec, s[20:21]                                   // 000000006B30: BEFE0114
	buffer_store_dword v49, v6, s[8:11], 0 offen               // 000000006B34: E0701000 80023106
	buffer_store_dword v51, v6, s[8:11], 0 offen offset:128    // 000000006B3C: E0701080 80023306
	s_mov_b64 exec, s[36:37]                                   // 000000006B44: BEFE0124
	v_mov_b32_e32 v6, v42                                      // 000000006B48: 7E0C032A
	s_mov_b64 s[60:61], 0                                      // 000000006B4C: BEBC0180
	v_readlane_b32 s82, v3, 4                                  // 000000006B50: D2890052 00010903
	s_and_b32 s82, s82, 0xffffff                               // 000000006B58: 8652FF52 00FFFFFF
	s_cmp_lt_u32 s82, s66                                      // 000000006B60: BF0A4252
	s_cselect_b32 s20, s36, s60                                // 000000006B64: 85143C24
	v_readlane_b32 s82, v3, 5                                  // 000000006B68: D2890052 00010B03
	s_and_b32 s82, s82, 0xffffff                               // 000000006B70: 8652FF52 00FFFFFF
	s_cmp_lt_u32 s82, s66                                      // 000000006B78: BF0A4252
	s_cselect_b32 s21, s36, s60                                // 000000006B7C: 85153C24
	s_mov_b64 exec, s[20:21]                                   // 000000006B80: BEFE0114
	buffer_store_dword v52, v6, s[8:11], 0 offen               // 000000006B84: E0701000 80023406
	buffer_store_dword v54, v6, s[8:11], 0 offen offset:128    // 000000006B8C: E0701080 80023606
	s_mov_b64 exec, s[36:37]                                   // 000000006B94: BEFE0124
	v_mov_b32_e32 v6, v43                                      // 000000006B98: 7E0C032B
	s_mov_b64 s[60:61], 0                                      // 000000006B9C: BEBC0180
	v_readlane_b32 s82, v3, 6                                  // 000000006BA0: D2890052 00010D03
	s_and_b32 s82, s82, 0xffffff                               // 000000006BA8: 8652FF52 00FFFFFF
	s_cmp_lt_u32 s82, s66                                      // 000000006BB0: BF0A4252
	s_cselect_b32 s20, s36, s60                                // 000000006BB4: 85143C24
	v_readlane_b32 s82, v3, 7                                  // 000000006BB8: D2890052 00010F03
	s_and_b32 s82, s82, 0xffffff                               // 000000006BC0: 8652FF52 00FFFFFF
	s_cmp_lt_u32 s82, s66                                      // 000000006BC8: BF0A4252
	s_cselect_b32 s21, s36, s60                                // 000000006BCC: 85153C24
	s_mov_b64 exec, s[20:21]                                   // 000000006BD0: BEFE0114
	buffer_store_dword v53, v6, s[8:11], 0 offen               // 000000006BD4: E0701000 80023506
	buffer_store_dword v55, v6, s[8:11], 0 offen offset:128    // 000000006BDC: E0701080 80023706
	s_mov_b64 exec, s[36:37]                                   // 000000006BE4: BEFE0124
	v_mov_b32_e32 v6, v44                                      // 000000006BE8: 7E0C032C
	s_mov_b64 s[60:61], 0                                      // 000000006BEC: BEBC0180
	v_readlane_b32 s82, v3, 8                                  // 000000006BF0: D2890052 00011103
	s_and_b32 s82, s82, 0xffffff                               // 000000006BF8: 8652FF52 00FFFFFF
	s_cmp_lt_u32 s82, s66                                      // 000000006C00: BF0A4252
	s_cselect_b32 s20, s36, s60                                // 000000006C04: 85143C24
	v_readlane_b32 s82, v3, 9                                  // 000000006C08: D2890052 00011303
	s_and_b32 s82, s82, 0xffffff                               // 000000006C10: 8652FF52 00FFFFFF
	s_cmp_lt_u32 s82, s66                                      // 000000006C18: BF0A4252
	s_cselect_b32 s21, s36, s60                                // 000000006C1C: 85153C24
	s_mov_b64 exec, s[20:21]                                   // 000000006C20: BEFE0114
	buffer_store_dword v56, v6, s[8:11], 0 offen               // 000000006C24: E0701000 80023806
	buffer_store_dword v58, v6, s[8:11], 0 offen offset:128    // 000000006C2C: E0701080 80023A06
	s_mov_b64 exec, s[36:37]                                   // 000000006C34: BEFE0124
	v_mov_b32_e32 v6, v45                                      // 000000006C38: 7E0C032D
	s_mov_b64 s[60:61], 0                                      // 000000006C3C: BEBC0180
	v_readlane_b32 s82, v3, 10                                 // 000000006C40: D2890052 00011503
	s_and_b32 s82, s82, 0xffffff                               // 000000006C48: 8652FF52 00FFFFFF
	s_cmp_lt_u32 s82, s66                                      // 000000006C50: BF0A4252
	s_cselect_b32 s20, s36, s60                                // 000000006C54: 85143C24
	v_readlane_b32 s82, v3, 11                                 // 000000006C58: D2890052 00011703
	s_and_b32 s82, s82, 0xffffff                               // 000000006C60: 8652FF52 00FFFFFF
	s_cmp_lt_u32 s82, s66                                      // 000000006C68: BF0A4252
	s_cselect_b32 s21, s36, s60                                // 000000006C6C: 85153C24
	s_mov_b64 exec, s[20:21]                                   // 000000006C70: BEFE0114
	buffer_store_dword v57, v6, s[8:11], 0 offen               // 000000006C74: E0701000 80023906
	buffer_store_dword v59, v6, s[8:11], 0 offen offset:128    // 000000006C7C: E0701080 80023B06
	s_mov_b64 exec, s[36:37]                                   // 000000006C84: BEFE0124
	s_branch label_13C4                                        // 000000006C88: BF82031E

0000000000006c8c <label_10A6>:
	ds_write_b64 v20, v[48:49]                                 // 000000006C8C: D89A0000 00003014
	ds_write_b64 v20, v[52:53] offset:4352                     // 000000006C94: D89A1100 00003414
	ds_write_b64 v20, v[56:57] offset:8704                     // 000000006C9C: D89A2200 00003814
	ds_write_b64 v20, v[60:61] offset:2176                     // 000000006CA4: D89A0880 00003C14
	ds_write_b64 v20, v[64:65] offset:6528                     // 000000006CAC: D89A1980 00004014
	ds_write_b64 v20, v[68:69] offset:10880                    // 000000006CB4: D89A2A80 00004414
	v_lshrrev_b32_e32 v4, 5, v0                                // 000000006CBC: 20080085
	v_xor_b32_e32 v5, 1, v4                                    // 000000006CC0: 2A0A0881
	s_mul_i32 s60, s65, 2                                      // 000000006CC4: 923C8241
	s_cmp_eq_u32 s88, 0                                        // 000000006CC8: BF068058
	s_cselect_b32 s61, 1, 4                                    // 000000006CCC: 853D8481
	s_mul_i32 s60, s61, s60                                    // 000000006CD0: 923C3C3D
	v_readlane_b32 s82, v3, 0                                  // 000000006CD4: D2890052 00010103
	s_lshr_b32 s61, s82, 24                                    // 000000006CDC: 8F3D9852
	s_and_b32 s82, s82, 0xffffff                               // 000000006CE0: 8652FF52 00FFFFFF
	s_mul_i32 s82, s82, s71                                    // 000000006CE8: 92524752
	s_mul_i32 s61, s60, s61                                    // 000000006CEC: 923D3D3C
	s_add_u32 s82, s82, s61                                    // 000000006CF0: 80523D52
	v_mul_lo_u32 v6, v5, s82                                   // 000000006CF4: D2850006 0000A505
	v_readlane_b32 s82, v3, 1                                  // 000000006CFC: D2890052 00010303
	s_lshr_b32 s61, s82, 24                                    // 000000006D04: 8F3D9852
	s_and_b32 s82, s82, 0xffffff                               // 000000006D08: 8652FF52 00FFFFFF
	s_mul_i32 s82, s82, s71                                    // 000000006D10: 92524752
	s_mul_i32 s61, s60, s61                                    // 000000006D14: 923D3D3C
	s_add_u32 s82, s82, s61                                    // 000000006D18: 80523D52
	v_mul_lo_u32 v7, v4, s82                                   // 000000006D1C: D2850007 0000A504
	v_add_u32_e32 v40, v6, v7                                  // 000000006D24: 68500F06
	v_readlane_b32 s82, v3, 2                                  // 000000006D28: D2890052 00010503
	s_lshr_b32 s61, s82, 24                                    // 000000006D30: 8F3D9852
	s_and_b32 s82, s82, 0xffffff                               // 000000006D34: 8652FF52 00FFFFFF
	s_mul_i32 s82, s82, s71                                    // 000000006D3C: 92524752
	s_mul_i32 s61, s60, s61                                    // 000000006D40: 923D3D3C
	s_add_u32 s82, s82, s61                                    // 000000006D44: 80523D52
	v_mul_lo_u32 v6, v5, s82                                   // 000000006D48: D2850006 0000A505
	v_readlane_b32 s82, v3, 3                                  // 000000006D50: D2890052 00010703
	s_lshr_b32 s61, s82, 24                                    // 000000006D58: 8F3D9852
	s_and_b32 s82, s82, 0xffffff                               // 000000006D5C: 8652FF52 00FFFFFF
	s_mul_i32 s82, s82, s71                                    // 000000006D64: 92524752
	s_mul_i32 s61, s60, s61                                    // 000000006D68: 923D3D3C
	s_add_u32 s82, s82, s61                                    // 000000006D6C: 80523D52
	v_mul_lo_u32 v7, v4, s82                                   // 000000006D70: D2850007 0000A504
	v_add_u32_e32 v41, v6, v7                                  // 000000006D78: 68520F06
	v_readlane_b32 s82, v3, 4                                  // 000000006D7C: D2890052 00010903
	s_lshr_b32 s61, s82, 24                                    // 000000006D84: 8F3D9852
	s_and_b32 s82, s82, 0xffffff                               // 000000006D88: 8652FF52 00FFFFFF
	s_mul_i32 s82, s82, s71                                    // 000000006D90: 92524752
	s_mul_i32 s61, s60, s61                                    // 000000006D94: 923D3D3C
	s_add_u32 s82, s82, s61                                    // 000000006D98: 80523D52
	v_mul_lo_u32 v6, v5, s82                                   // 000000006D9C: D2850006 0000A505
	v_readlane_b32 s82, v3, 5                                  // 000000006DA4: D2890052 00010B03
	s_lshr_b32 s61, s82, 24                                    // 000000006DAC: 8F3D9852
	s_and_b32 s82, s82, 0xffffff                               // 000000006DB0: 8652FF52 00FFFFFF
	s_mul_i32 s82, s82, s71                                    // 000000006DB8: 92524752
	s_mul_i32 s61, s60, s61                                    // 000000006DBC: 923D3D3C
	s_add_u32 s82, s82, s61                                    // 000000006DC0: 80523D52
	v_mul_lo_u32 v7, v4, s82                                   // 000000006DC4: D2850007 0000A504
	v_add_u32_e32 v42, v6, v7                                  // 000000006DCC: 68540F06
	v_readlane_b32 s82, v3, 6                                  // 000000006DD0: D2890052 00010D03
	s_lshr_b32 s61, s82, 24                                    // 000000006DD8: 8F3D9852
	s_and_b32 s82, s82, 0xffffff                               // 000000006DDC: 8652FF52 00FFFFFF
	s_mul_i32 s82, s82, s71                                    // 000000006DE4: 92524752
	s_mul_i32 s61, s60, s61                                    // 000000006DE8: 923D3D3C
	s_add_u32 s82, s82, s61                                    // 000000006DEC: 80523D52
	v_mul_lo_u32 v6, v5, s82                                   // 000000006DF0: D2850006 0000A505
	v_readlane_b32 s82, v3, 7                                  // 000000006DF8: D2890052 00010F03
	s_lshr_b32 s61, s82, 24                                    // 000000006E00: 8F3D9852
	s_and_b32 s82, s82, 0xffffff                               // 000000006E04: 8652FF52 00FFFFFF
	s_mul_i32 s82, s82, s71                                    // 000000006E0C: 92524752
	s_mul_i32 s61, s60, s61                                    // 000000006E10: 923D3D3C
	s_add_u32 s82, s82, s61                                    // 000000006E14: 80523D52
	v_mul_lo_u32 v7, v4, s82                                   // 000000006E18: D2850007 0000A504
	v_add_u32_e32 v43, v6, v7                                  // 000000006E20: 68560F06
	v_readlane_b32 s82, v3, 8                                  // 000000006E24: D2890052 00011103
	s_lshr_b32 s61, s82, 24                                    // 000000006E2C: 8F3D9852
	s_and_b32 s82, s82, 0xffffff                               // 000000006E30: 8652FF52 00FFFFFF
	s_mul_i32 s82, s82, s71                                    // 000000006E38: 92524752
	s_mul_i32 s61, s60, s61                                    // 000000006E3C: 923D3D3C
	s_add_u32 s82, s82, s61                                    // 000000006E40: 80523D52
	v_mul_lo_u32 v6, v5, s82                                   // 000000006E44: D2850006 0000A505
	v_readlane_b32 s82, v3, 9                                  // 000000006E4C: D2890052 00011303
	s_lshr_b32 s61, s82, 24                                    // 000000006E54: 8F3D9852
	s_and_b32 s82, s82, 0xffffff                               // 000000006E58: 8652FF52 00FFFFFF
	s_mul_i32 s82, s82, s71                                    // 000000006E60: 92524752
	s_mul_i32 s61, s60, s61                                    // 000000006E64: 923D3D3C
	s_add_u32 s82, s82, s61                                    // 000000006E68: 80523D52
	v_mul_lo_u32 v7, v4, s82                                   // 000000006E6C: D2850007 0000A504
	v_add_u32_e32 v44, v6, v7                                  // 000000006E74: 68580F06
	v_readlane_b32 s82, v3, 10                                 // 000000006E78: D2890052 00011503
	s_lshr_b32 s61, s82, 24                                    // 000000006E80: 8F3D9852
	s_and_b32 s82, s82, 0xffffff                               // 000000006E84: 8652FF52 00FFFFFF
	s_mul_i32 s82, s82, s71                                    // 000000006E8C: 92524752
	s_mul_i32 s61, s60, s61                                    // 000000006E90: 923D3D3C
	s_add_u32 s82, s82, s61                                    // 000000006E94: 80523D52
	v_mul_lo_u32 v6, v5, s82                                   // 000000006E98: D2850006 0000A505
	v_readlane_b32 s82, v3, 11                                 // 000000006EA0: D2890052 00011703
	s_lshr_b32 s61, s82, 24                                    // 000000006EA8: 8F3D9852
	s_and_b32 s82, s82, 0xffffff                               // 000000006EAC: 8652FF52 00FFFFFF
	s_mul_i32 s82, s82, s71                                    // 000000006EB4: 92524752
	s_mul_i32 s61, s60, s61                                    // 000000006EB8: 923D3D3C
	s_add_u32 s82, s82, s61                                    // 000000006EBC: 80523D52
	v_mul_lo_u32 v7, v4, s82                                   // 000000006EC0: D2850007 0000A504
	v_add_u32_e32 v45, v6, v7                                  // 000000006EC8: 685A0F06
	v_and_b32_e32 v4, 31, v0                                   // 000000006ECC: 2608009F
	v_lshrrev_b32_e32 v4, 1, v4                                // 000000006ED0: 20080881
	s_cmp_eq_u32 s88, 0                                        // 000000006ED4: BF068058
	s_cselect_b32 s61, 2, 4                                    // 000000006ED8: 853D8482
	v_mul_lo_u32 v4, v4, s61                                   // 000000006EDC: D2850004 00007B04
	v_and_b32_e64 v5, v0, 1                                    // 000000006EE4: D1130005 00010300
	v_add_u32_e32 v4, v4, v5                                   // 000000006EEC: 68080B04
	v_lshlrev_b32_e32 v4, 2, v4                                // 000000006EF0: 24080882
	v_add_u32_e32 v40, v40, v4                                 // 000000006EF4: 68500928
	v_add_u32_e32 v41, v41, v4                                 // 000000006EF8: 68520929
	v_add_u32_e32 v42, v42, v4                                 // 000000006EFC: 6854092A
	v_add_u32_e32 v43, v43, v4                                 // 000000006F00: 6856092B
	v_add_u32_e32 v44, v44, v4                                 // 000000006F04: 6858092C
	v_add_u32_e32 v45, v45, v4                                 // 000000006F08: 685A092D
	s_waitcnt lgkmcnt(0)                                       // 000000006F0C: BF8CC07F
	s_barrier                                                  // 000000006F10: BF8A0000
	ds_read_b32 v48, v21                                       // 000000006F14: D86C0000 30000015
	ds_read_b32 v49, v21 offset:64                             // 000000006F1C: D86C0040 31000015
	ds_read_b32 v52, v21 offset:2176                           // 000000006F24: D86C0880 34000015
	ds_read_b32 v53, v21 offset:2240                           // 000000006F2C: D86C08C0 35000015
	ds_read_b32 v56, v21 offset:4352                           // 000000006F34: D86C1100 38000015
	ds_read_b32 v57, v21 offset:4416                           // 000000006F3C: D86C1140 39000015
	ds_read_b32 v60, v21 offset:6528                           // 000000006F44: D86C1980 3C000015
	ds_read_b32 v61, v21 offset:6592                           // 000000006F4C: D86C19C0 3D000015
	ds_read_b32 v64, v21 offset:8704                           // 000000006F54: D86C2200 40000015
	ds_read_b32 v65, v21 offset:8768                           // 000000006F5C: D86C2240 41000015
	ds_read_b32 v68, v21 offset:10880                          // 000000006F64: D86C2A80 44000015
	ds_read_b32 v69, v21 offset:10944                          // 000000006F6C: D86C2AC0 45000015
	s_waitcnt lgkmcnt(0)                                       // 000000006F74: BF8CC07F
	s_mov_b32 s36, -1                                          // 000000006F78: BEA400C1
	s_mov_b32 s37, -1                                          // 000000006F7C: BEA500C1
	v_mov_b32_e32 v7, 0                                        // 000000006F80: 7E0E0280
	s_mov_b64 exec, s[36:37]                                   // 000000006F84: BEFE0124
	v_mov_b32_e32 v6, v40                                      // 000000006F88: 7E0C0328
	s_mov_b64 s[60:61], 0                                      // 000000006F8C: BEBC0180
	v_readlane_b32 s82, v3, 0                                  // 000000006F90: D2890052 00010103
	s_and_b32 s82, s82, 0xffffff                               // 000000006F98: 8652FF52 00FFFFFF
	s_cmp_lt_u32 s82, s66                                      // 000000006FA0: BF0A4252
	s_cselect_b32 s20, s36, s60                                // 000000006FA4: 85143C24
	v_readlane_b32 s82, v3, 1                                  // 000000006FA8: D2890052 00010303
	s_and_b32 s82, s82, 0xffffff                               // 000000006FB0: 8652FF52 00FFFFFF
	s_cmp_lt_u32 s82, s66                                      // 000000006FB8: BF0A4252
	s_cselect_b32 s21, s36, s60                                // 000000006FBC: 85153C24
	s_mov_b64 exec, s[20:21]                                   // 000000006FC0: BEFE0114
	global_atomic_add_f32 v6, v48, s[8:9]                      // 000000006FC4: DD348000 00083006
	global_atomic_add_f32 v6, v52, s[8:9] offset:256           // 000000006FCC: DD348100 00083406
	s_mov_b64 exec, s[36:37]                                   // 000000006FD4: BEFE0124
	v_mov_b32_e32 v6, v41                                      // 000000006FD8: 7E0C0329
	s_mov_b64 s[60:61], 0                                      // 000000006FDC: BEBC0180
	v_readlane_b32 s82, v3, 2                                  // 000000006FE0: D2890052 00010503
	s_and_b32 s82, s82, 0xffffff                               // 000000006FE8: 8652FF52 00FFFFFF
	s_cmp_lt_u32 s82, s66                                      // 000000006FF0: BF0A4252
	s_cselect_b32 s20, s36, s60                                // 000000006FF4: 85143C24
	v_readlane_b32 s82, v3, 3                                  // 000000006FF8: D2890052 00010703
	s_and_b32 s82, s82, 0xffffff                               // 000000007000: 8652FF52 00FFFFFF
	s_cmp_lt_u32 s82, s66                                      // 000000007008: BF0A4252
	s_cselect_b32 s21, s36, s60                                // 00000000700C: 85153C24
	s_mov_b64 exec, s[20:21]                                   // 000000007010: BEFE0114
	global_atomic_add_f32 v6, v49, s[8:9]                      // 000000007014: DD348000 00083106
	global_atomic_add_f32 v6, v53, s[8:9] offset:256           // 00000000701C: DD348100 00083506
	s_mov_b64 exec, s[36:37]                                   // 000000007024: BEFE0124
	v_mov_b32_e32 v6, v42                                      // 000000007028: 7E0C032A
	s_mov_b64 s[60:61], 0                                      // 00000000702C: BEBC0180
	v_readlane_b32 s82, v3, 4                                  // 000000007030: D2890052 00010903
	s_and_b32 s82, s82, 0xffffff                               // 000000007038: 8652FF52 00FFFFFF
	s_cmp_lt_u32 s82, s66                                      // 000000007040: BF0A4252
	s_cselect_b32 s20, s36, s60                                // 000000007044: 85143C24
	v_readlane_b32 s82, v3, 5                                  // 000000007048: D2890052 00010B03
	s_and_b32 s82, s82, 0xffffff                               // 000000007050: 8652FF52 00FFFFFF
	s_cmp_lt_u32 s82, s66                                      // 000000007058: BF0A4252
	s_cselect_b32 s21, s36, s60                                // 00000000705C: 85153C24
	s_mov_b64 exec, s[20:21]                                   // 000000007060: BEFE0114
	global_atomic_add_f32 v6, v56, s[8:9]                      // 000000007064: DD348000 00083806
	global_atomic_add_f32 v6, v60, s[8:9] offset:256           // 00000000706C: DD348100 00083C06
	s_mov_b64 exec, s[36:37]                                   // 000000007074: BEFE0124
	v_mov_b32_e32 v6, v43                                      // 000000007078: 7E0C032B
	s_mov_b64 s[60:61], 0                                      // 00000000707C: BEBC0180
	v_readlane_b32 s82, v3, 6                                  // 000000007080: D2890052 00010D03
	s_and_b32 s82, s82, 0xffffff                               // 000000007088: 8652FF52 00FFFFFF
	s_cmp_lt_u32 s82, s66                                      // 000000007090: BF0A4252
	s_cselect_b32 s20, s36, s60                                // 000000007094: 85143C24
	v_readlane_b32 s82, v3, 7                                  // 000000007098: D2890052 00010F03
	s_and_b32 s82, s82, 0xffffff                               // 0000000070A0: 8652FF52 00FFFFFF
	s_cmp_lt_u32 s82, s66                                      // 0000000070A8: BF0A4252
	s_cselect_b32 s21, s36, s60                                // 0000000070AC: 85153C24
	s_mov_b64 exec, s[20:21]                                   // 0000000070B0: BEFE0114
	global_atomic_add_f32 v6, v57, s[8:9]                      // 0000000070B4: DD348000 00083906
	global_atomic_add_f32 v6, v61, s[8:9] offset:256           // 0000000070BC: DD348100 00083D06
	s_mov_b64 exec, s[36:37]                                   // 0000000070C4: BEFE0124
	v_mov_b32_e32 v6, v44                                      // 0000000070C8: 7E0C032C
	s_mov_b64 s[60:61], 0                                      // 0000000070CC: BEBC0180
	v_readlane_b32 s82, v3, 8                                  // 0000000070D0: D2890052 00011103
	s_and_b32 s82, s82, 0xffffff                               // 0000000070D8: 8652FF52 00FFFFFF
	s_cmp_lt_u32 s82, s66                                      // 0000000070E0: BF0A4252
	s_cselect_b32 s20, s36, s60                                // 0000000070E4: 85143C24
	v_readlane_b32 s82, v3, 9                                  // 0000000070E8: D2890052 00011303
	s_and_b32 s82, s82, 0xffffff                               // 0000000070F0: 8652FF52 00FFFFFF
	s_cmp_lt_u32 s82, s66                                      // 0000000070F8: BF0A4252
	s_cselect_b32 s21, s36, s60                                // 0000000070FC: 85153C24
	s_mov_b64 exec, s[20:21]                                   // 000000007100: BEFE0114
	global_atomic_add_f32 v6, v64, s[8:9]                      // 000000007104: DD348000 00084006
	global_atomic_add_f32 v6, v68, s[8:9] offset:256           // 00000000710C: DD348100 00084406
	s_mov_b64 exec, s[36:37]                                   // 000000007114: BEFE0124
	v_mov_b32_e32 v6, v45                                      // 000000007118: 7E0C032D
	s_mov_b64 s[60:61], 0                                      // 00000000711C: BEBC0180
	v_readlane_b32 s82, v3, 10                                 // 000000007120: D2890052 00011503
	s_and_b32 s82, s82, 0xffffff                               // 000000007128: 8652FF52 00FFFFFF
	s_cmp_lt_u32 s82, s66                                      // 000000007130: BF0A4252
	s_cselect_b32 s20, s36, s60                                // 000000007134: 85143C24
	v_readlane_b32 s82, v3, 11                                 // 000000007138: D2890052 00011703
	s_and_b32 s82, s82, 0xffffff                               // 000000007140: 8652FF52 00FFFFFF
	s_cmp_lt_u32 s82, s66                                      // 000000007148: BF0A4252
	s_cselect_b32 s21, s36, s60                                // 00000000714C: 85153C24
	s_mov_b64 exec, s[20:21]                                   // 000000007150: BEFE0114
	global_atomic_add_f32 v6, v65, s[8:9]                      // 000000007154: DD348000 00084106
	global_atomic_add_f32 v6, v69, s[8:9] offset:256           // 00000000715C: DD348100 00084506
	s_mov_b64 exec, s[36:37]                                   // 000000007164: BEFE0124
	ds_write_b64 v20, v[50:51]                                 // 000000007168: D89A0000 00003214
	ds_write_b64 v20, v[54:55] offset:4352                     // 000000007170: D89A1100 00003614
	ds_write_b64 v20, v[58:59] offset:8704                     // 000000007178: D89A2200 00003A14
	ds_write_b64 v20, v[62:63] offset:2176                     // 000000007180: D89A0880 00003E14
	ds_write_b64 v20, v[66:67] offset:6528                     // 000000007188: D89A1980 00004214
	ds_write_b64 v20, v[70:71] offset:10880                    // 000000007190: D89A2A80 00004614
	s_waitcnt lgkmcnt(0)                                       // 000000007198: BF8CC07F
	s_barrier                                                  // 00000000719C: BF8A0000
	ds_read_b32 v50, v21                                       // 0000000071A0: D86C0000 32000015
	ds_read_b32 v51, v21 offset:64                             // 0000000071A8: D86C0040 33000015
	ds_read_b32 v54, v21 offset:2176                           // 0000000071B0: D86C0880 36000015
	ds_read_b32 v55, v21 offset:2240                           // 0000000071B8: D86C08C0 37000015
	ds_read_b32 v58, v21 offset:4352                           // 0000000071C0: D86C1100 3A000015
	ds_read_b32 v59, v21 offset:4416                           // 0000000071C8: D86C1140 3B000015
	ds_read_b32 v62, v21 offset:6528                           // 0000000071D0: D86C1980 3E000015
	ds_read_b32 v63, v21 offset:6592                           // 0000000071D8: D86C19C0 3F000015
	ds_read_b32 v66, v21 offset:8704                           // 0000000071E0: D86C2200 42000015
	ds_read_b32 v67, v21 offset:8768                           // 0000000071E8: D86C2240 43000015
	ds_read_b32 v70, v21 offset:10880                          // 0000000071F0: D86C2A80 46000015
	ds_read_b32 v71, v21 offset:10944                          // 0000000071F8: D86C2AC0 47000015
	s_waitcnt lgkmcnt(0)                                       // 000000007200: BF8CC07F
	v_mov_b32_e32 v7, 0                                        // 000000007204: 7E0E0280
	s_mov_b64 exec, s[36:37]                                   // 000000007208: BEFE0124
	v_mov_b32_e32 v6, v40                                      // 00000000720C: 7E0C0328
	s_mov_b64 s[60:61], 0                                      // 000000007210: BEBC0180
	v_readlane_b32 s82, v3, 0                                  // 000000007214: D2890052 00010103
	s_and_b32 s82, s82, 0xffffff                               // 00000000721C: 8652FF52 00FFFFFF
	s_cmp_lt_u32 s82, s66                                      // 000000007224: BF0A4252
	s_cselect_b32 s20, s36, s60                                // 000000007228: 85143C24
	v_readlane_b32 s82, v3, 1                                  // 00000000722C: D2890052 00010303
	s_and_b32 s82, s82, 0xffffff                               // 000000007234: 8652FF52 00FFFFFF
	s_cmp_lt_u32 s82, s66                                      // 00000000723C: BF0A4252
	s_cselect_b32 s21, s36, s60                                // 000000007240: 85153C24
	s_mov_b64 exec, s[20:21]                                   // 000000007244: BEFE0114
	global_atomic_add_f32 v6, v50, s[8:9] offset:8             // 000000007248: DD348008 00083206
	global_atomic_add_f32 v6, v54, s[8:9] offset:264           // 000000007250: DD348108 00083606
	s_mov_b64 exec, s[36:37]                                   // 000000007258: BEFE0124
	v_mov_b32_e32 v6, v41                                      // 00000000725C: 7E0C0329
	s_mov_b64 s[60:61], 0                                      // 000000007260: BEBC0180
	v_readlane_b32 s82, v3, 2                                  // 000000007264: D2890052 00010503
	s_and_b32 s82, s82, 0xffffff                               // 00000000726C: 8652FF52 00FFFFFF
	s_cmp_lt_u32 s82, s66                                      // 000000007274: BF0A4252
	s_cselect_b32 s20, s36, s60                                // 000000007278: 85143C24
	v_readlane_b32 s82, v3, 3                                  // 00000000727C: D2890052 00010703
	s_and_b32 s82, s82, 0xffffff                               // 000000007284: 8652FF52 00FFFFFF
	s_cmp_lt_u32 s82, s66                                      // 00000000728C: BF0A4252
	s_cselect_b32 s21, s36, s60                                // 000000007290: 85153C24
	s_mov_b64 exec, s[20:21]                                   // 000000007294: BEFE0114
	global_atomic_add_f32 v6, v51, s[8:9] offset:8             // 000000007298: DD348008 00083306
	global_atomic_add_f32 v6, v55, s[8:9] offset:264           // 0000000072A0: DD348108 00083706
	s_mov_b64 exec, s[36:37]                                   // 0000000072A8: BEFE0124
	v_mov_b32_e32 v6, v42                                      // 0000000072AC: 7E0C032A
	s_mov_b64 s[60:61], 0                                      // 0000000072B0: BEBC0180
	v_readlane_b32 s82, v3, 4                                  // 0000000072B4: D2890052 00010903
	s_and_b32 s82, s82, 0xffffff                               // 0000000072BC: 8652FF52 00FFFFFF
	s_cmp_lt_u32 s82, s66                                      // 0000000072C4: BF0A4252
	s_cselect_b32 s20, s36, s60                                // 0000000072C8: 85143C24
	v_readlane_b32 s82, v3, 5                                  // 0000000072CC: D2890052 00010B03
	s_and_b32 s82, s82, 0xffffff                               // 0000000072D4: 8652FF52 00FFFFFF
	s_cmp_lt_u32 s82, s66                                      // 0000000072DC: BF0A4252
	s_cselect_b32 s21, s36, s60                                // 0000000072E0: 85153C24
	s_mov_b64 exec, s[20:21]                                   // 0000000072E4: BEFE0114
	global_atomic_add_f32 v6, v58, s[8:9] offset:8             // 0000000072E8: DD348008 00083A06
	global_atomic_add_f32 v6, v62, s[8:9] offset:264           // 0000000072F0: DD348108 00083E06
	s_mov_b64 exec, s[36:37]                                   // 0000000072F8: BEFE0124
	v_mov_b32_e32 v6, v43                                      // 0000000072FC: 7E0C032B
	s_mov_b64 s[60:61], 0                                      // 000000007300: BEBC0180
	v_readlane_b32 s82, v3, 6                                  // 000000007304: D2890052 00010D03
	s_and_b32 s82, s82, 0xffffff                               // 00000000730C: 8652FF52 00FFFFFF
	s_cmp_lt_u32 s82, s66                                      // 000000007314: BF0A4252
	s_cselect_b32 s20, s36, s60                                // 000000007318: 85143C24
	v_readlane_b32 s82, v3, 7                                  // 00000000731C: D2890052 00010F03
	s_and_b32 s82, s82, 0xffffff                               // 000000007324: 8652FF52 00FFFFFF
	s_cmp_lt_u32 s82, s66                                      // 00000000732C: BF0A4252
	s_cselect_b32 s21, s36, s60                                // 000000007330: 85153C24
	s_mov_b64 exec, s[20:21]                                   // 000000007334: BEFE0114
	global_atomic_add_f32 v6, v59, s[8:9] offset:8             // 000000007338: DD348008 00083B06
	global_atomic_add_f32 v6, v63, s[8:9] offset:264           // 000000007340: DD348108 00083F06
	s_mov_b64 exec, s[36:37]                                   // 000000007348: BEFE0124
	v_mov_b32_e32 v6, v44                                      // 00000000734C: 7E0C032C
	s_mov_b64 s[60:61], 0                                      // 000000007350: BEBC0180
	v_readlane_b32 s82, v3, 8                                  // 000000007354: D2890052 00011103
	s_and_b32 s82, s82, 0xffffff                               // 00000000735C: 8652FF52 00FFFFFF
	s_cmp_lt_u32 s82, s66                                      // 000000007364: BF0A4252
	s_cselect_b32 s20, s36, s60                                // 000000007368: 85143C24
	v_readlane_b32 s82, v3, 9                                  // 00000000736C: D2890052 00011303
	s_and_b32 s82, s82, 0xffffff                               // 000000007374: 8652FF52 00FFFFFF
	s_cmp_lt_u32 s82, s66                                      // 00000000737C: BF0A4252
	s_cselect_b32 s21, s36, s60                                // 000000007380: 85153C24
	s_mov_b64 exec, s[20:21]                                   // 000000007384: BEFE0114
	global_atomic_add_f32 v6, v66, s[8:9] offset:8             // 000000007388: DD348008 00084206
	global_atomic_add_f32 v6, v70, s[8:9] offset:264           // 000000007390: DD348108 00084606
	s_mov_b64 exec, s[36:37]                                   // 000000007398: BEFE0124
	v_mov_b32_e32 v6, v45                                      // 00000000739C: 7E0C032D
	s_mov_b64 s[60:61], 0                                      // 0000000073A0: BEBC0180
	v_readlane_b32 s82, v3, 10                                 // 0000000073A4: D2890052 00011503
	s_and_b32 s82, s82, 0xffffff                               // 0000000073AC: 8652FF52 00FFFFFF
	s_cmp_lt_u32 s82, s66                                      // 0000000073B4: BF0A4252
	s_cselect_b32 s20, s36, s60                                // 0000000073B8: 85143C24
	v_readlane_b32 s82, v3, 11                                 // 0000000073BC: D2890052 00011703
	s_and_b32 s82, s82, 0xffffff                               // 0000000073C4: 8652FF52 00FFFFFF
	s_cmp_lt_u32 s82, s66                                      // 0000000073CC: BF0A4252
	s_cselect_b32 s21, s36, s60                                // 0000000073D0: 85153C24
	s_mov_b64 exec, s[20:21]                                   // 0000000073D4: BEFE0114
	global_atomic_add_f32 v6, v67, s[8:9] offset:8             // 0000000073D8: DD348008 00084306
	global_atomic_add_f32 v6, v71, s[8:9] offset:264           // 0000000073E0: DD348108 00084706
	s_mov_b64 exec, s[36:37]                                   // 0000000073E8: BEFE0124
	ds_write_b64 v20, v[72:73]                                 // 0000000073EC: D89A0000 00004814
	ds_write_b64 v20, v[76:77] offset:4352                     // 0000000073F4: D89A1100 00004C14
	ds_write_b64 v20, v[80:81] offset:8704                     // 0000000073FC: D89A2200 00005014
	ds_write_b64 v20, v[84:85] offset:2176                     // 000000007404: D89A0880 00005414
	ds_write_b64 v20, v[88:89] offset:6528                     // 00000000740C: D89A1980 00005814
	ds_write_b64 v20, v[92:93] offset:10880                    // 000000007414: D89A2A80 00005C14
	s_waitcnt lgkmcnt(0)                                       // 00000000741C: BF8CC07F
	s_barrier                                                  // 000000007420: BF8A0000
	ds_read_b32 v72, v21                                       // 000000007424: D86C0000 48000015
	ds_read_b32 v73, v21 offset:64                             // 00000000742C: D86C0040 49000015
	ds_read_b32 v76, v21 offset:2176                           // 000000007434: D86C0880 4C000015
	ds_read_b32 v77, v21 offset:2240                           // 00000000743C: D86C08C0 4D000015
	ds_read_b32 v80, v21 offset:4352                           // 000000007444: D86C1100 50000015
	ds_read_b32 v81, v21 offset:4416                           // 00000000744C: D86C1140 51000015
	ds_read_b32 v84, v21 offset:6528                           // 000000007454: D86C1980 54000015
	ds_read_b32 v85, v21 offset:6592                           // 00000000745C: D86C19C0 55000015
	ds_read_b32 v88, v21 offset:8704                           // 000000007464: D86C2200 58000015
	ds_read_b32 v89, v21 offset:8768                           // 00000000746C: D86C2240 59000015
	ds_read_b32 v92, v21 offset:10880                          // 000000007474: D86C2A80 5C000015
	ds_read_b32 v93, v21 offset:10944                          // 00000000747C: D86C2AC0 5D000015
	s_mul_i32 s60, s65, 4                                      // 000000007484: 923C8441
	s_add_u32 s8, s60, s8                                      // 000000007488: 8008083C
	s_addc_u32 s9, 0, s9                                       // 00000000748C: 82090980
	s_waitcnt lgkmcnt(0)                                       // 000000007490: BF8CC07F
	v_mov_b32_e32 v7, 0                                        // 000000007494: 7E0E0280
	s_mov_b64 exec, s[36:37]                                   // 000000007498: BEFE0124
	v_mov_b32_e32 v6, v40                                      // 00000000749C: 7E0C0328
	s_mov_b64 s[60:61], 0                                      // 0000000074A0: BEBC0180
	v_readlane_b32 s82, v3, 0                                  // 0000000074A4: D2890052 00010103
	s_and_b32 s82, s82, 0xffffff                               // 0000000074AC: 8652FF52 00FFFFFF
	s_cmp_lt_u32 s82, s66                                      // 0000000074B4: BF0A4252
	s_cselect_b32 s20, s36, s60                                // 0000000074B8: 85143C24
	v_readlane_b32 s82, v3, 1                                  // 0000000074BC: D2890052 00010303
	s_and_b32 s82, s82, 0xffffff                               // 0000000074C4: 8652FF52 00FFFFFF
	s_cmp_lt_u32 s82, s66                                      // 0000000074CC: BF0A4252
	s_cselect_b32 s21, s36, s60                                // 0000000074D0: 85153C24
	s_mov_b64 exec, s[20:21]                                   // 0000000074D4: BEFE0114
	global_atomic_add_f32 v6, v72, s[8:9]                      // 0000000074D8: DD348000 00084806
	global_atomic_add_f32 v6, v76, s[8:9] offset:256           // 0000000074E0: DD348100 00084C06
	s_mov_b64 exec, s[36:37]                                   // 0000000074E8: BEFE0124
	v_mov_b32_e32 v6, v41                                      // 0000000074EC: 7E0C0329
	s_mov_b64 s[60:61], 0                                      // 0000000074F0: BEBC0180
	v_readlane_b32 s82, v3, 2                                  // 0000000074F4: D2890052 00010503
	s_and_b32 s82, s82, 0xffffff                               // 0000000074FC: 8652FF52 00FFFFFF
	s_cmp_lt_u32 s82, s66                                      // 000000007504: BF0A4252
	s_cselect_b32 s20, s36, s60                                // 000000007508: 85143C24
	v_readlane_b32 s82, v3, 3                                  // 00000000750C: D2890052 00010703
	s_and_b32 s82, s82, 0xffffff                               // 000000007514: 8652FF52 00FFFFFF
	s_cmp_lt_u32 s82, s66                                      // 00000000751C: BF0A4252
	s_cselect_b32 s21, s36, s60                                // 000000007520: 85153C24
	s_mov_b64 exec, s[20:21]                                   // 000000007524: BEFE0114
	global_atomic_add_f32 v6, v73, s[8:9]                      // 000000007528: DD348000 00084906
	global_atomic_add_f32 v6, v77, s[8:9] offset:256           // 000000007530: DD348100 00084D06
	s_mov_b64 exec, s[36:37]                                   // 000000007538: BEFE0124
	v_mov_b32_e32 v6, v42                                      // 00000000753C: 7E0C032A
	s_mov_b64 s[60:61], 0                                      // 000000007540: BEBC0180
	v_readlane_b32 s82, v3, 4                                  // 000000007544: D2890052 00010903
	s_and_b32 s82, s82, 0xffffff                               // 00000000754C: 8652FF52 00FFFFFF
	s_cmp_lt_u32 s82, s66                                      // 000000007554: BF0A4252
	s_cselect_b32 s20, s36, s60                                // 000000007558: 85143C24
	v_readlane_b32 s82, v3, 5                                  // 00000000755C: D2890052 00010B03
	s_and_b32 s82, s82, 0xffffff                               // 000000007564: 8652FF52 00FFFFFF
	s_cmp_lt_u32 s82, s66                                      // 00000000756C: BF0A4252
	s_cselect_b32 s21, s36, s60                                // 000000007570: 85153C24
	s_mov_b64 exec, s[20:21]                                   // 000000007574: BEFE0114
	global_atomic_add_f32 v6, v80, s[8:9]                      // 000000007578: DD348000 00085006
	global_atomic_add_f32 v6, v84, s[8:9] offset:256           // 000000007580: DD348100 00085406
	s_mov_b64 exec, s[36:37]                                   // 000000007588: BEFE0124
	v_mov_b32_e32 v6, v43                                      // 00000000758C: 7E0C032B
	s_mov_b64 s[60:61], 0                                      // 000000007590: BEBC0180
	v_readlane_b32 s82, v3, 6                                  // 000000007594: D2890052 00010D03
	s_and_b32 s82, s82, 0xffffff                               // 00000000759C: 8652FF52 00FFFFFF
	s_cmp_lt_u32 s82, s66                                      // 0000000075A4: BF0A4252
	s_cselect_b32 s20, s36, s60                                // 0000000075A8: 85143C24
	v_readlane_b32 s82, v3, 7                                  // 0000000075AC: D2890052 00010F03
	s_and_b32 s82, s82, 0xffffff                               // 0000000075B4: 8652FF52 00FFFFFF
	s_cmp_lt_u32 s82, s66                                      // 0000000075BC: BF0A4252
	s_cselect_b32 s21, s36, s60                                // 0000000075C0: 85153C24
	s_mov_b64 exec, s[20:21]                                   // 0000000075C4: BEFE0114
	global_atomic_add_f32 v6, v81, s[8:9]                      // 0000000075C8: DD348000 00085106
	global_atomic_add_f32 v6, v85, s[8:9] offset:256           // 0000000075D0: DD348100 00085506
	s_mov_b64 exec, s[36:37]                                   // 0000000075D8: BEFE0124
	v_mov_b32_e32 v6, v44                                      // 0000000075DC: 7E0C032C
	s_mov_b64 s[60:61], 0                                      // 0000000075E0: BEBC0180
	v_readlane_b32 s82, v3, 8                                  // 0000000075E4: D2890052 00011103
	s_and_b32 s82, s82, 0xffffff                               // 0000000075EC: 8652FF52 00FFFFFF
	s_cmp_lt_u32 s82, s66                                      // 0000000075F4: BF0A4252
	s_cselect_b32 s20, s36, s60                                // 0000000075F8: 85143C24
	v_readlane_b32 s82, v3, 9                                  // 0000000075FC: D2890052 00011303
	s_and_b32 s82, s82, 0xffffff                               // 000000007604: 8652FF52 00FFFFFF
	s_cmp_lt_u32 s82, s66                                      // 00000000760C: BF0A4252
	s_cselect_b32 s21, s36, s60                                // 000000007610: 85153C24
	s_mov_b64 exec, s[20:21]                                   // 000000007614: BEFE0114
	global_atomic_add_f32 v6, v88, s[8:9]                      // 000000007618: DD348000 00085806
	global_atomic_add_f32 v6, v92, s[8:9] offset:256           // 000000007620: DD348100 00085C06
	s_mov_b64 exec, s[36:37]                                   // 000000007628: BEFE0124
	v_mov_b32_e32 v6, v45                                      // 00000000762C: 7E0C032D
	s_mov_b64 s[60:61], 0                                      // 000000007630: BEBC0180
	v_readlane_b32 s82, v3, 10                                 // 000000007634: D2890052 00011503
	s_and_b32 s82, s82, 0xffffff                               // 00000000763C: 8652FF52 00FFFFFF
	s_cmp_lt_u32 s82, s66                                      // 000000007644: BF0A4252
	s_cselect_b32 s20, s36, s60                                // 000000007648: 85143C24
	v_readlane_b32 s82, v3, 11                                 // 00000000764C: D2890052 00011703
	s_and_b32 s82, s82, 0xffffff                               // 000000007654: 8652FF52 00FFFFFF
	s_cmp_lt_u32 s82, s66                                      // 00000000765C: BF0A4252
	s_cselect_b32 s21, s36, s60                                // 000000007660: 85153C24
	s_mov_b64 exec, s[20:21]                                   // 000000007664: BEFE0114
	global_atomic_add_f32 v6, v89, s[8:9]                      // 000000007668: DD348000 00085906
	global_atomic_add_f32 v6, v93, s[8:9] offset:256           // 000000007670: DD348100 00085D06
	s_mov_b64 exec, s[36:37]                                   // 000000007678: BEFE0124
	ds_write_b64 v20, v[74:75]                                 // 00000000767C: D89A0000 00004A14
	ds_write_b64 v20, v[78:79] offset:4352                     // 000000007684: D89A1100 00004E14
	ds_write_b64 v20, v[82:83] offset:8704                     // 00000000768C: D89A2200 00005214
	ds_write_b64 v20, v[86:87] offset:2176                     // 000000007694: D89A0880 00005614
	ds_write_b64 v20, v[90:91] offset:6528                     // 00000000769C: D89A1980 00005A14
	ds_write_b64 v20, v[94:95] offset:10880                    // 0000000076A4: D89A2A80 00005E14
	s_waitcnt lgkmcnt(0)                                       // 0000000076AC: BF8CC07F
	s_barrier                                                  // 0000000076B0: BF8A0000
	ds_read_b32 v74, v21                                       // 0000000076B4: D86C0000 4A000015
	ds_read_b32 v75, v21 offset:64                             // 0000000076BC: D86C0040 4B000015
	ds_read_b32 v78, v21 offset:2176                           // 0000000076C4: D86C0880 4E000015
	ds_read_b32 v79, v21 offset:2240                           // 0000000076CC: D86C08C0 4F000015
	ds_read_b32 v82, v21 offset:4352                           // 0000000076D4: D86C1100 52000015
	ds_read_b32 v83, v21 offset:4416                           // 0000000076DC: D86C1140 53000015
	ds_read_b32 v86, v21 offset:6528                           // 0000000076E4: D86C1980 56000015
	ds_read_b32 v87, v21 offset:6592                           // 0000000076EC: D86C19C0 57000015
	ds_read_b32 v90, v21 offset:8704                           // 0000000076F4: D86C2200 5A000015
	ds_read_b32 v91, v21 offset:8768                           // 0000000076FC: D86C2240 5B000015
	ds_read_b32 v94, v21 offset:10880                          // 000000007704: D86C2A80 5E000015
	ds_read_b32 v95, v21 offset:10944                          // 00000000770C: D86C2AC0 5F000015
	s_waitcnt lgkmcnt(0)                                       // 000000007714: BF8CC07F
	v_mov_b32_e32 v7, 0                                        // 000000007718: 7E0E0280
	s_mov_b64 exec, s[36:37]                                   // 00000000771C: BEFE0124
	v_mov_b32_e32 v6, v40                                      // 000000007720: 7E0C0328
	s_mov_b64 s[60:61], 0                                      // 000000007724: BEBC0180
	v_readlane_b32 s82, v3, 0                                  // 000000007728: D2890052 00010103
	s_and_b32 s82, s82, 0xffffff                               // 000000007730: 8652FF52 00FFFFFF
	s_cmp_lt_u32 s82, s66                                      // 000000007738: BF0A4252
	s_cselect_b32 s20, s36, s60                                // 00000000773C: 85143C24
	v_readlane_b32 s82, v3, 1                                  // 000000007740: D2890052 00010303
	s_and_b32 s82, s82, 0xffffff                               // 000000007748: 8652FF52 00FFFFFF
	s_cmp_lt_u32 s82, s66                                      // 000000007750: BF0A4252
	s_cselect_b32 s21, s36, s60                                // 000000007754: 85153C24
	s_mov_b64 exec, s[20:21]                                   // 000000007758: BEFE0114
	global_atomic_add_f32 v6, v74, s[8:9] offset:8             // 00000000775C: DD348008 00084A06
	global_atomic_add_f32 v6, v78, s[8:9] offset:264           // 000000007764: DD348108 00084E06
	s_mov_b64 exec, s[36:37]                                   // 00000000776C: BEFE0124
	v_mov_b32_e32 v6, v41                                      // 000000007770: 7E0C0329
	s_mov_b64 s[60:61], 0                                      // 000000007774: BEBC0180
	v_readlane_b32 s82, v3, 2                                  // 000000007778: D2890052 00010503
	s_and_b32 s82, s82, 0xffffff                               // 000000007780: 8652FF52 00FFFFFF
	s_cmp_lt_u32 s82, s66                                      // 000000007788: BF0A4252
	s_cselect_b32 s20, s36, s60                                // 00000000778C: 85143C24
	v_readlane_b32 s82, v3, 3                                  // 000000007790: D2890052 00010703
	s_and_b32 s82, s82, 0xffffff                               // 000000007798: 8652FF52 00FFFFFF
	s_cmp_lt_u32 s82, s66                                      // 0000000077A0: BF0A4252
	s_cselect_b32 s21, s36, s60                                // 0000000077A4: 85153C24
	s_mov_b64 exec, s[20:21]                                   // 0000000077A8: BEFE0114
	global_atomic_add_f32 v6, v75, s[8:9] offset:8             // 0000000077AC: DD348008 00084B06
	global_atomic_add_f32 v6, v79, s[8:9] offset:264           // 0000000077B4: DD348108 00084F06
	s_mov_b64 exec, s[36:37]                                   // 0000000077BC: BEFE0124
	v_mov_b32_e32 v6, v42                                      // 0000000077C0: 7E0C032A
	s_mov_b64 s[60:61], 0                                      // 0000000077C4: BEBC0180
	v_readlane_b32 s82, v3, 4                                  // 0000000077C8: D2890052 00010903
	s_and_b32 s82, s82, 0xffffff                               // 0000000077D0: 8652FF52 00FFFFFF
	s_cmp_lt_u32 s82, s66                                      // 0000000077D8: BF0A4252
	s_cselect_b32 s20, s36, s60                                // 0000000077DC: 85143C24
	v_readlane_b32 s82, v3, 5                                  // 0000000077E0: D2890052 00010B03
	s_and_b32 s82, s82, 0xffffff                               // 0000000077E8: 8652FF52 00FFFFFF
	s_cmp_lt_u32 s82, s66                                      // 0000000077F0: BF0A4252
	s_cselect_b32 s21, s36, s60                                // 0000000077F4: 85153C24
	s_mov_b64 exec, s[20:21]                                   // 0000000077F8: BEFE0114
	global_atomic_add_f32 v6, v82, s[8:9] offset:8             // 0000000077FC: DD348008 00085206
	global_atomic_add_f32 v6, v86, s[8:9] offset:264           // 000000007804: DD348108 00085606
	s_mov_b64 exec, s[36:37]                                   // 00000000780C: BEFE0124
	v_mov_b32_e32 v6, v43                                      // 000000007810: 7E0C032B
	s_mov_b64 s[60:61], 0                                      // 000000007814: BEBC0180
	v_readlane_b32 s82, v3, 6                                  // 000000007818: D2890052 00010D03
	s_and_b32 s82, s82, 0xffffff                               // 000000007820: 8652FF52 00FFFFFF
	s_cmp_lt_u32 s82, s66                                      // 000000007828: BF0A4252
	s_cselect_b32 s20, s36, s60                                // 00000000782C: 85143C24
	v_readlane_b32 s82, v3, 7                                  // 000000007830: D2890052 00010F03
	s_and_b32 s82, s82, 0xffffff                               // 000000007838: 8652FF52 00FFFFFF
	s_cmp_lt_u32 s82, s66                                      // 000000007840: BF0A4252
	s_cselect_b32 s21, s36, s60                                // 000000007844: 85153C24
	s_mov_b64 exec, s[20:21]                                   // 000000007848: BEFE0114
	global_atomic_add_f32 v6, v83, s[8:9] offset:8             // 00000000784C: DD348008 00085306
	global_atomic_add_f32 v6, v87, s[8:9] offset:264           // 000000007854: DD348108 00085706
	s_mov_b64 exec, s[36:37]                                   // 00000000785C: BEFE0124
	v_mov_b32_e32 v6, v44                                      // 000000007860: 7E0C032C
	s_mov_b64 s[60:61], 0                                      // 000000007864: BEBC0180
	v_readlane_b32 s82, v3, 8                                  // 000000007868: D2890052 00011103
	s_and_b32 s82, s82, 0xffffff                               // 000000007870: 8652FF52 00FFFFFF
	s_cmp_lt_u32 s82, s66                                      // 000000007878: BF0A4252
	s_cselect_b32 s20, s36, s60                                // 00000000787C: 85143C24
	v_readlane_b32 s82, v3, 9                                  // 000000007880: D2890052 00011303
	s_and_b32 s82, s82, 0xffffff                               // 000000007888: 8652FF52 00FFFFFF
	s_cmp_lt_u32 s82, s66                                      // 000000007890: BF0A4252
	s_cselect_b32 s21, s36, s60                                // 000000007894: 85153C24
	s_mov_b64 exec, s[20:21]                                   // 000000007898: BEFE0114
	global_atomic_add_f32 v6, v90, s[8:9] offset:8             // 00000000789C: DD348008 00085A06
	global_atomic_add_f32 v6, v94, s[8:9] offset:264           // 0000000078A4: DD348108 00085E06
	s_mov_b64 exec, s[36:37]                                   // 0000000078AC: BEFE0124
	v_mov_b32_e32 v6, v45                                      // 0000000078B0: 7E0C032D
	s_mov_b64 s[60:61], 0                                      // 0000000078B4: BEBC0180
	v_readlane_b32 s82, v3, 10                                 // 0000000078B8: D2890052 00011503
	s_and_b32 s82, s82, 0xffffff                               // 0000000078C0: 8652FF52 00FFFFFF
	s_cmp_lt_u32 s82, s66                                      // 0000000078C8: BF0A4252
	s_cselect_b32 s20, s36, s60                                // 0000000078CC: 85143C24
	v_readlane_b32 s82, v3, 11                                 // 0000000078D0: D2890052 00011703
	s_and_b32 s82, s82, 0xffffff                               // 0000000078D8: 8652FF52 00FFFFFF
	s_cmp_lt_u32 s82, s66                                      // 0000000078E0: BF0A4252
	s_cselect_b32 s21, s36, s60                                // 0000000078E4: 85153C24
	s_mov_b64 exec, s[20:21]                                   // 0000000078E8: BEFE0114
	global_atomic_add_f32 v6, v91, s[8:9] offset:8             // 0000000078EC: DD348008 00085B06
	global_atomic_add_f32 v6, v95, s[8:9] offset:264           // 0000000078F4: DD348108 00085F06
	s_mov_b64 exec, s[36:37]                                   // 0000000078FC: BEFE0124
	s_branch label_13C4                                        // 000000007900: BF820000

0000000000007904 <label_13C4>:
	s_waitcnt vmcnt(0) expcnt(0) lgkmcnt(0)                    // 000000007904: BF8C0000
	s_endpgm                                                   // 000000007908: BF810000
